;; amdgpu-corpus repo=ROCm/rocFFT kind=compiled arch=gfx1201 opt=O3
	.text
	.amdgcn_target "amdgcn-amd-amdhsa--gfx1201"
	.amdhsa_code_object_version 6
	.protected	bluestein_single_back_len1875_dim1_sp_op_CI_CI ; -- Begin function bluestein_single_back_len1875_dim1_sp_op_CI_CI
	.globl	bluestein_single_back_len1875_dim1_sp_op_CI_CI
	.p2align	8
	.type	bluestein_single_back_len1875_dim1_sp_op_CI_CI,@function
bluestein_single_back_len1875_dim1_sp_op_CI_CI: ; @bluestein_single_back_len1875_dim1_sp_op_CI_CI
; %bb.0:
	s_load_b128 s[16:19], s[0:1], 0x28
	v_mul_u32_u24_e32 v1, 0x20d, v0
	v_mov_b32_e32 v127, 0
	s_mov_b32 s2, exec_lo
	s_delay_alu instid0(VALU_DEP_2) | instskip(NEXT) | instid1(VALU_DEP_1)
	v_lshrrev_b32_e32 v30, 16, v1
	v_lshl_add_u32 v126, ttmp9, 1, v30
	s_wait_kmcnt 0x0
	s_delay_alu instid0(VALU_DEP_1)
	v_cmpx_gt_u64_e64 s[16:17], v[126:127]
	s_cbranch_execz .LBB0_2
; %bb.1:
	s_clause 0x1
	s_load_b128 s[4:7], s[0:1], 0x18
	s_load_b128 s[8:11], s[0:1], 0x0
	v_mul_lo_u16 v1, 0x7d, v30
	v_and_b32_e32 v30, 1, v30
	s_delay_alu instid0(VALU_DEP_2) | instskip(NEXT) | instid1(VALU_DEP_1)
	v_sub_nc_u16 v40, v0, v1
	v_and_b32_e32 v127, 0xffff, v40
	s_delay_alu instid0(VALU_DEP_1)
	v_lshlrev_b32_e32 v84, 3, v127
	v_add_co_u32 v64, null, 0x7d, v127
	s_wait_kmcnt 0x0
	s_load_b128 s[12:15], s[4:5], 0x0
	s_clause 0x5
	global_load_b64 v[106:107], v84, s[8:9] offset:3000
	global_load_b64 v[104:105], v84, s[8:9] offset:6000
	;; [unrolled: 1-line block ×4, first 2 shown]
	global_load_b64 v[114:115], v84, s[8:9]
	global_load_b64 v[96:97], v84, s[8:9] offset:1000
	s_wait_kmcnt 0x0
	v_mad_co_u64_u32 v[0:1], null, s14, v126, 0
	v_mad_co_u64_u32 v[2:3], null, s12, v127, 0
	s_mul_u64 s[2:3], s[12:13], 0xbb8
	s_mul_i32 s4, s13, 0xffffd508
	s_delay_alu instid0(SALU_CYCLE_1) | instskip(NEXT) | instid1(VALU_DEP_1)
	s_sub_co_i32 s4, s4, s12
	v_mad_co_u64_u32 v[4:5], null, s15, v126, v[1:2]
	s_delay_alu instid0(VALU_DEP_1) | instskip(SKIP_1) | instid1(VALU_DEP_1)
	v_mad_co_u64_u32 v[5:6], null, s13, v127, v[3:4]
	v_mov_b32_e32 v1, v4
	v_lshlrev_b64_e32 v[0:1], 3, v[0:1]
	s_delay_alu instid0(VALU_DEP_3) | instskip(NEXT) | instid1(VALU_DEP_2)
	v_mov_b32_e32 v3, v5
	v_add_co_u32 v0, vcc_lo, s18, v0
	s_delay_alu instid0(VALU_DEP_2) | instskip(NEXT) | instid1(VALU_DEP_4)
	v_lshlrev_b64_e32 v[2:3], 3, v[2:3]
	v_add_co_ci_u32_e32 v1, vcc_lo, s19, v1, vcc_lo
	s_delay_alu instid0(VALU_DEP_2) | instskip(SKIP_1) | instid1(VALU_DEP_2)
	v_add_co_u32 v0, vcc_lo, v0, v2
	s_wait_alu 0xfffd
	v_add_co_ci_u32_e32 v1, vcc_lo, v1, v3, vcc_lo
	s_delay_alu instid0(VALU_DEP_2) | instskip(SKIP_1) | instid1(VALU_DEP_2)
	v_add_co_u32 v2, vcc_lo, v0, s2
	s_wait_alu 0xfffd
	v_add_co_ci_u32_e32 v3, vcc_lo, s3, v1, vcc_lo
	global_load_b64 v[0:1], v[0:1], off
	global_load_b64 v[102:103], v84, s[8:9] offset:4000
	v_add_co_u32 v4, vcc_lo, v2, s2
	s_wait_alu 0xfffd
	v_add_co_ci_u32_e32 v5, vcc_lo, s3, v3, vcc_lo
	global_load_b64 v[10:11], v[2:3], off
	v_add_co_u32 v6, vcc_lo, v4, s2
	s_wait_alu 0xfffd
	v_add_co_ci_u32_e32 v7, vcc_lo, s3, v5, vcc_lo
	s_clause 0x1
	global_load_b64 v[12:13], v[4:5], off
	global_load_b64 v[2:3], v[6:7], off
	v_add_co_u32 v8, vcc_lo, v6, s2
	s_wait_alu 0xfffd
	v_add_co_ci_u32_e32 v9, vcc_lo, s3, v7, vcc_lo
	v_and_b32_e32 v42, 0xff, v64
	v_and_b32_e32 v43, 0xff, v40
	s_delay_alu instid0(VALU_DEP_3) | instskip(SKIP_4) | instid1(VALU_DEP_2)
	v_mad_co_u64_u32 v[14:15], null, 0xffffd508, s12, v[8:9]
	global_load_b64 v[4:5], v[8:9], off
	v_add_nc_u32_e32 v15, s4, v15
	v_add_co_u32 v16, vcc_lo, v14, s2
	s_wait_alu 0xfffd
	v_add_co_ci_u32_e32 v17, vcc_lo, s3, v15, vcc_lo
	s_delay_alu instid0(VALU_DEP_2)
	v_add_co_u32 v18, vcc_lo, v16, s2
	global_load_b64 v[6:7], v[14:15], off
	s_wait_alu 0xfffd
	v_add_co_ci_u32_e32 v19, vcc_lo, s3, v17, vcc_lo
	v_add_co_u32 v20, vcc_lo, v18, s2
	s_clause 0x1
	global_load_b64 v[108:109], v84, s[8:9] offset:7000
	global_load_b64 v[110:111], v84, s[8:9] offset:13000
	global_load_b64 v[8:9], v[16:17], off
	s_wait_alu 0xfffd
	v_add_co_ci_u32_e32 v21, vcc_lo, s3, v19, vcc_lo
	v_add_co_u32 v14, vcc_lo, v20, s2
	s_clause 0x3
	global_load_b64 v[112:113], v84, s[8:9] offset:2000
	global_load_b64 v[116:117], v84, s[8:9] offset:5000
	;; [unrolled: 1-line block ×4, first 2 shown]
	global_load_b64 v[28:29], v[18:19], off
	global_load_b64 v[122:123], v84, s[8:9] offset:8000
	global_load_b64 v[26:27], v[20:21], off
	s_wait_alu 0xfffd
	v_add_co_ci_u32_e32 v15, vcc_lo, s3, v21, vcc_lo
	s_delay_alu instid0(VALU_DEP_1) | instskip(SKIP_4) | instid1(VALU_DEP_2)
	v_mad_co_u64_u32 v[16:17], null, 0xffffd508, s12, v[14:15]
	global_load_b64 v[24:25], v[14:15], off
	v_add_nc_u32_e32 v17, s4, v17
	v_add_co_u32 v14, vcc_lo, v16, s2
	s_wait_alu 0xfffd
	v_add_co_ci_u32_e32 v15, vcc_lo, s3, v17, vcc_lo
	global_load_b64 v[18:19], v[16:17], off
	v_add_co_u32 v16, vcc_lo, v14, s2
	s_wait_alu 0xfffd
	v_add_co_ci_u32_e32 v17, vcc_lo, s3, v15, vcc_lo
	global_load_b64 v[20:21], v[14:15], off
	;; [unrolled: 4-line block ×4, first 2 shown]
	global_load_b64 v[124:125], v84, s[8:9] offset:14000
	global_load_b64 v[22:23], v[31:32], off
	v_mul_lo_u16 v31, v40, 5
	v_cmp_eq_u32_e32 vcc_lo, 1, v30
	s_load_b128 s[4:7], s[6:7], 0x0
	s_delay_alu instid0(VALU_DEP_2) | instskip(SKIP_1) | instid1(VALU_DEP_1)
	v_and_b32_e32 v30, 0xffff, v31
	v_cndmask_b32_e64 v65, 0, 0x3a98, vcc_lo
	v_lshl_add_u32 v136, v30, 3, v65
	s_wait_loadcnt 0x15
	v_dual_mul_f32 v33, v10, v107 :: v_dual_add_nc_u32 v128, v65, v84
	v_mul_lo_u16 v30, 0xcd, v42
	s_delay_alu instid0(VALU_DEP_1)
	v_lshrrev_b16 v45, 10, v30
	v_mul_f32_e32 v30, v1, v115
	v_add_co_u32 v68, null, 0xfa, v127
	s_wait_loadcnt 0x14
	v_mul_f32_e32 v38, v12, v105
	v_mul_lo_u16 v37, v45, 5
	v_fmac_f32_e32 v30, v0, v114
	v_and_b32_e32 v66, 0xffff, v68
	s_delay_alu instid0(VALU_DEP_1) | instskip(NEXT) | instid1(VALU_DEP_1)
	v_mul_u32_u24_e32 v32, 0xcccd, v66
	v_lshrrev_b32_e32 v44, 18, v32
	v_mul_f32_e32 v32, v13, v105
	v_mul_lo_u16 v31, 0xcd, v43
	s_delay_alu instid0(VALU_DEP_2) | instskip(NEXT) | instid1(VALU_DEP_2)
	v_fmac_f32_e32 v32, v12, v104
	v_lshrrev_b16 v41, 10, v31
	s_delay_alu instid0(VALU_DEP_1) | instskip(NEXT) | instid1(VALU_DEP_1)
	v_mul_lo_u16 v31, v41, 5
	v_sub_nc_u16 v36, v40, v31
	v_mul_f32_e32 v31, v0, v115
	v_dual_mul_f32 v0, v11, v107 :: v_dual_add_nc_u32 v129, 0x2400, v128
	v_add_nc_u32_e32 v35, 0x3000, v128
	v_add_nc_u32_e32 v133, 0x400, v128
	s_delay_alu instid0(VALU_DEP_4) | instskip(NEXT) | instid1(VALU_DEP_4)
	v_fma_f32 v31, v1, v114, -v31
	v_fmac_f32_e32 v0, v10, v106
	s_wait_loadcnt 0x13
	v_mul_f32_e32 v10, v3, v99
	v_fma_f32 v1, v11, v106, -v33
	v_fma_f32 v33, v13, v104, -v38
	v_mul_f32_e32 v11, v2, v99
	s_wait_loadcnt 0x12
	v_mul_f32_e32 v13, v4, v101
	s_wait_loadcnt 0x11
	v_mul_f32_e32 v12, v7, v97
	v_dual_mul_f32 v38, v6, v97 :: v_dual_add_nc_u32 v131, 0x2c00, v128
	v_fmac_f32_e32 v10, v2, v98
	v_mul_f32_e32 v2, v5, v101
	v_add_nc_u32_e32 v130, 0xc00, v128
	v_fma_f32 v11, v3, v98, -v11
	v_fma_f32 v3, v5, v100, -v13
	s_wait_loadcnt 0xe
	v_dual_mul_f32 v5, v8, v103 :: v_dual_fmac_f32 v12, v6, v96
	v_fma_f32 v13, v7, v96, -v38
	v_fmac_f32_e32 v2, v4, v100
	v_mul_f32_e32 v4, v9, v103
	s_delay_alu instid0(VALU_DEP_4)
	v_fma_f32 v5, v9, v102, -v5
	s_wait_loadcnt 0x5
	v_mul_f32_e32 v9, v18, v113
	ds_store_b64 v128, v[0:1] offset:3000
	ds_store_b64 v128, v[32:33] offset:6000
	;; [unrolled: 1-line block ×4, first 2 shown]
	s_wait_loadcnt 0x4
	v_mul_f32_e32 v11, v20, v117
	ds_store_2addr_b64 v128, v[30:31], v[12:13] offset1:125
	v_fmac_f32_e32 v4, v8, v102
	v_mul_f32_e32 v8, v19, v113
	s_wait_loadcnt 0x3
	v_mul_f32_e32 v12, v15, v123
	v_mul_f32_e32 v10, v21, v117
	v_dual_mul_f32 v1, v28, v109 :: v_dual_add_nc_u32 v34, 0x1800, v128
	v_dual_mul_f32 v0, v29, v109 :: v_dual_mul_f32 v13, v14, v123
	v_dual_mul_f32 v3, v26, v119 :: v_dual_add_nc_u32 v134, 0x1400, v128
	v_mul_f32_e32 v2, v27, v119
	v_fma_f32 v9, v19, v112, -v9
	v_fmac_f32_e32 v12, v14, v122
	s_wait_loadcnt 0x2
	v_mul_f32_e32 v14, v17, v121
	v_dual_mul_f32 v19, v16, v121 :: v_dual_add_nc_u32 v132, 0x1c00, v128
	v_mul_f32_e32 v7, v24, v111
	v_mul_f32_e32 v6, v25, v111
	v_fmac_f32_e32 v8, v18, v112
	v_fmac_f32_e32 v10, v20, v116
	s_wait_loadcnt 0x0
	v_mul_f32_e32 v18, v23, v125
	v_mul_f32_e32 v20, v22, v125
	v_fma_f32 v11, v21, v116, -v11
	v_fmac_f32_e32 v0, v28, v108
	v_fma_f32 v1, v29, v108, -v1
	v_fma_f32 v13, v15, v122, -v13
	v_fmac_f32_e32 v2, v26, v118
	v_fma_f32 v3, v27, v118, -v3
	v_fmac_f32_e32 v14, v16, v120
	;; [unrolled: 2-line block ×4, first 2 shown]
	v_fma_f32 v19, v23, v124, -v20
	ds_store_b64 v128, v[8:9] offset:2000
	ds_store_2addr_b64 v130, v[4:5], v[10:11] offset0:116 offset1:241
	ds_store_2addr_b64 v34, v[0:1], v[12:13] offset0:107 offset1:232
	;; [unrolled: 1-line block ×4, first 2 shown]
	global_wb scope:SCOPE_SE
	s_wait_dscnt 0x0
	s_wait_kmcnt 0x0
	s_barrier_signal -1
	s_barrier_wait -1
	global_inv scope:SCOPE_SE
	ds_load_2addr_b64 v[6:9], v128 offset1:125
	ds_load_2addr_b64 v[10:13], v133 offset0:122 offset1:247
	ds_load_2addr_b64 v[14:17], v134 offset0:110 offset1:235
	;; [unrolled: 1-line block ×4, first 2 shown]
	v_mul_u32_u24_e32 v0, 5, v64
	v_mul_u32_u24_e32 v1, 5, v68
	v_mul_lo_u16 v2, v44, 5
	v_and_b32_e32 v3, 0xff, v36
	v_sub_nc_u16 v4, v64, v37
	v_lshl_add_u32 v141, v0, 3, v65
	v_lshl_add_u32 v139, v1, 3, v65
	ds_load_2addr_b64 v[26:29], v130 offset0:116 offset1:241
	ds_load_2addr_b64 v[30:33], v129 offset0:98 offset1:223
	ds_load_b64 v[0:1], v128 offset:14000
	v_sub_nc_u16 v5, v68, v2
	v_and_b32_e32 v4, 0xff, v4
	v_lshlrev_b32_e32 v34, 5, v3
	global_wb scope:SCOPE_SE
	s_wait_dscnt 0x0
	s_barrier_signal -1
	s_barrier_wait -1
	global_inv scope:SCOPE_SE
	v_dual_add_f32 v49, v7, v13 :: v_dual_sub_f32 v38, v12, v14
	v_add_f32_e32 v35, v14, v20
	v_dual_sub_f32 v39, v22, v20 :: v_dual_add_f32 v50, v15, v21
	v_dual_add_f32 v55, v13, v23 :: v_dual_add_f32 v2, v6, v12
	v_sub_f32_e32 v36, v13, v23
	v_dual_add_f32 v46, v12, v22 :: v_dual_sub_f32 v47, v14, v12
	v_dual_sub_f32 v51, v12, v22 :: v_dual_sub_f32 v52, v14, v20
	v_sub_f32_e32 v53, v13, v15
	v_sub_f32_e32 v57, v21, v23
	v_dual_add_f32 v59, v16, v30 :: v_dual_sub_f32 v62, v26, v16
	v_dual_sub_f32 v63, v24, v30 :: v_dual_sub_f32 v56, v15, v13
	v_sub_f32_e32 v83, v0, v32
	v_add_f32_e32 v85, v28, v0
	v_dual_sub_f32 v91, v18, v32 :: v_dual_sub_f32 v48, v20, v22
	v_fma_f32 v12, -0.5, v35, v6
	v_add_f32_e32 v35, v38, v39
	v_add_f32_e32 v39, v49, v15
	v_fma_f32 v13, -0.5, v50, v7
	v_sub_f32_e32 v82, v28, v18
	v_fma_f32 v7, -0.5, v55, v7
	v_add_f32_e32 v88, v11, v29
	v_dual_sub_f32 v54, v23, v21 :: v_dual_sub_f32 v87, v32, v0
	v_add_f32_e32 v71, v9, v27
	v_dual_sub_f32 v37, v15, v21 :: v_dual_add_f32 v58, v8, v26
	v_add_f32_e32 v67, v26, v24
	v_sub_f32_e32 v69, v16, v26
	v_sub_f32_e32 v73, v26, v24
	v_dual_add_f32 v78, v10, v28 :: v_dual_add_f32 v39, v39, v21
	v_sub_f32_e32 v80, v29, v1
	v_dual_sub_f32 v81, v19, v33 :: v_dual_sub_f32 v86, v18, v28
	v_fmamk_f32 v21, v52, 0x3f737871, v7
	v_dual_add_f32 v89, v19, v33 :: v_dual_sub_f32 v90, v28, v0
	v_sub_f32_e32 v28, v29, v19
	v_add_f32_e32 v93, v29, v1
	v_dual_add_f32 v72, v17, v31 :: v_dual_sub_f32 v29, v19, v29
	v_add_f32_e32 v2, v2, v14
	v_add_f32_e32 v38, v47, v48
	v_fma_f32 v14, -0.5, v59, v8
	v_add_f32_e32 v49, v62, v63
	v_add_f32_e32 v47, v56, v57
	v_dual_fmac_f32 v7, 0xbf737871, v52 :: v_dual_sub_f32 v26, v27, v17
	v_add_f32_e32 v59, v88, v19
	v_fmamk_f32 v19, v51, 0xbf737871, v13
	v_dual_fmac_f32 v13, 0x3f737871, v51 :: v_dual_sub_f32 v74, v16, v30
	v_dual_add_f32 v57, v82, v83 :: v_dual_sub_f32 v94, v33, v1
	v_dual_add_f32 v76, v27, v25 :: v_dual_add_f32 v79, v18, v32
	v_fma_f32 v6, -0.5, v46, v6
	v_dual_add_f32 v46, v53, v54 :: v_dual_add_f32 v59, v59, v33
	v_add_f32_e32 v53, v71, v17
	v_sub_f32_e32 v61, v17, v31
	v_sub_f32_e32 v77, v31, v25
	v_dual_add_f32 v63, v29, v94 :: v_dual_sub_f32 v60, v27, v25
	v_sub_f32_e32 v27, v17, v27
	v_fma_f32 v17, -0.5, v89, v11
	v_fmac_f32_e32 v11, -0.5, v93
	v_fma_f32 v15, -0.5, v72, v9
	v_fmac_f32_e32 v9, -0.5, v76
	v_sub_f32_e32 v75, v25, v31
	v_sub_f32_e32 v92, v1, v33
	v_fma_f32 v8, -0.5, v67, v8
	v_dual_sub_f32 v70, v30, v24 :: v_dual_add_f32 v55, v27, v77
	v_dual_add_f32 v56, v78, v18 :: v_dual_add_f32 v53, v53, v31
	v_add_f32_e32 v48, v58, v16
	v_fma_f32 v16, -0.5, v79, v10
	v_fma_f32 v10, -0.5, v85, v10
	s_delay_alu instid0(VALU_DEP_4)
	v_dual_fmamk_f32 v18, v36, 0x3f737871, v12 :: v_dual_add_f32 v25, v53, v25
	v_dual_fmamk_f32 v27, v73, 0xbf737871, v15 :: v_dual_add_f32 v2, v2, v20
	v_fmac_f32_e32 v21, 0xbf167918, v51
	v_fmamk_f32 v20, v37, 0xbf737871, v6
	v_fmac_f32_e32 v6, 0x3f737871, v37
	v_dual_fmac_f32 v12, 0xbf737871, v36 :: v_dual_add_f32 v1, v59, v1
	v_dual_add_f32 v54, v26, v75 :: v_dual_fmac_f32 v19, 0xbf167918, v52
	v_fmamk_f32 v26, v60, 0x3f737871, v14
	v_fmac_f32_e32 v14, 0xbf737871, v60
	v_fmac_f32_e32 v15, 0x3f737871, v73
	v_dual_fmamk_f32 v29, v74, 0x3f737871, v9 :: v_dual_add_f32 v62, v28, v92
	v_dual_add_f32 v23, v39, v23 :: v_dual_fmamk_f32 v28, v61, 0xbf737871, v8
	v_fmac_f32_e32 v8, 0x3f737871, v61
	v_fmac_f32_e32 v9, 0xbf737871, v74
	v_dual_add_f32 v50, v69, v70 :: v_dual_fmamk_f32 v33, v91, 0x3f737871, v11
	v_fmamk_f32 v31, v90, 0xbf737871, v17
	v_fmac_f32_e32 v17, 0x3f737871, v90
	v_dual_add_f32 v48, v48, v30 :: v_dual_fmac_f32 v7, 0x3f167918, v51
	v_fmamk_f32 v30, v80, 0x3f737871, v16
	v_dual_fmac_f32 v16, 0xbf737871, v80 :: v_dual_fmac_f32 v11, 0xbf737871, v91
	v_dual_add_f32 v56, v56, v32 :: v_dual_fmac_f32 v27, 0xbf167918, v74
	v_fmamk_f32 v32, v81, 0xbf737871, v10
	v_fmac_f32_e32 v10, 0x3f737871, v81
	v_dual_fmac_f32 v18, 0x3f167918, v37 :: v_dual_fmac_f32 v15, 0x3f167918, v74
	v_dual_fmac_f32 v20, 0x3f167918, v36 :: v_dual_fmac_f32 v9, 0x3f167918, v73
	;; [unrolled: 1-line block ×3, first 2 shown]
	v_dual_add_f32 v58, v86, v87 :: v_dual_fmac_f32 v13, 0x3f167918, v52
	v_dual_fmac_f32 v12, 0xbf167918, v37 :: v_dual_fmac_f32 v31, 0xbf167918, v91
	v_dual_fmac_f32 v26, 0x3f167918, v61 :: v_dual_fmac_f32 v11, 0x3f167918, v90
	v_dual_add_f32 v22, v2, v22 :: v_dual_fmac_f32 v29, 0xbf167918, v73
	v_fmac_f32_e32 v14, 0xbf167918, v61
	v_fmac_f32_e32 v28, 0x3f167918, v60
	;; [unrolled: 1-line block ×3, first 2 shown]
	v_dual_add_f32 v24, v48, v24 :: v_dual_fmac_f32 v17, 0x3f167918, v91
	v_dual_add_f32 v0, v56, v0 :: v_dual_fmac_f32 v19, 0x3e9e377a, v46
	v_fmac_f32_e32 v30, 0x3f167918, v81
	v_fmac_f32_e32 v16, 0xbf167918, v81
	;; [unrolled: 1-line block ×4, first 2 shown]
	v_dual_fmac_f32 v18, 0x3e9e377a, v35 :: v_dual_fmac_f32 v13, 0x3e9e377a, v46
	v_dual_fmac_f32 v20, 0x3e9e377a, v38 :: v_dual_fmac_f32 v21, 0x3e9e377a, v47
	;; [unrolled: 1-line block ×11, first 2 shown]
	v_fmac_f32_e32 v10, 0x3e9e377a, v58
	ds_store_2addr_b64 v136, v[22:23], v[18:19] offset1:1
	ds_store_2addr_b64 v136, v[20:21], v[6:7] offset0:2 offset1:3
	ds_store_b64 v136, v[12:13] offset:32
	ds_store_2addr_b64 v141, v[24:25], v[26:27] offset1:1
	ds_store_2addr_b64 v141, v[28:29], v[8:9] offset0:2 offset1:3
	ds_store_b64 v141, v[14:15] offset:32
	ds_store_b64 v139, v[16:17] offset:32
	ds_store_2addr_b64 v139, v[0:1], v[30:31] offset1:1
	ds_store_2addr_b64 v139, v[32:33], v[10:11] offset0:2 offset1:3
	v_lshlrev_b16 v0, 2, v5
	v_lshlrev_b32_e32 v1, 5, v4
	global_wb scope:SCOPE_SE
	s_wait_dscnt 0x0
	s_barrier_signal -1
	s_barrier_wait -1
	global_inv scope:SCOPE_SE
	s_clause 0x2
	global_load_b128 v[36:39], v34, s[10:11]
	global_load_b128 v[28:31], v1, s[10:11]
	global_load_b128 v[32:35], v34, s[10:11] offset:16
	v_and_b32_e32 v0, 0xffff, v0
	v_mul_lo_u16 v7, v42, 41
	v_and_b32_e32 v8, 0xffff, v41
	v_mad_u16 v5, v44, 25, v5
	s_delay_alu instid0(VALU_DEP_4)
	v_lshlrev_b32_e32 v0, 3, v0
	s_clause 0x2
	global_load_b128 v[24:27], v1, s[10:11] offset:16
	global_load_b128 v[20:23], v0, s[10:11]
	global_load_b128 v[16:19], v0, s[10:11] offset:16
	v_mul_u32_u24_e32 v1, 0x47af, v66
	v_and_b32_e32 v52, 0xffff, v5
	v_mul_lo_u16 v0, v43, 41
	ds_load_2addr_b64 v[10:13], v134 offset0:110 offset1:235
	v_lshrrev_b32_e32 v6, 16, v1
	v_lshrrev_b16 v0, 10, v0
	s_delay_alu instid0(VALU_DEP_2) | instskip(NEXT) | instid1(VALU_DEP_2)
	v_sub_nc_u16 v2, v68, v6
	v_mul_lo_u16 v1, v0, 25
	s_delay_alu instid0(VALU_DEP_2) | instskip(SKIP_2) | instid1(VALU_DEP_4)
	v_lshrrev_b16 v9, 1, v2
	v_lshrrev_b16 v2, 10, v7
	v_mul_u32_u24_e32 v7, 25, v8
	v_sub_nc_u16 v1, v40, v1
	ds_load_2addr_b64 v[40:43], v132 offset0:104 offset1:229
	v_add_nc_u16 v6, v9, v6
	v_mul_lo_u16 v9, v2, 25
	v_add_nc_u32_e32 v7, v7, v3
	v_and_b32_e32 v1, 0xff, v1
	s_delay_alu instid0(VALU_DEP_4) | instskip(NEXT) | instid1(VALU_DEP_4)
	v_lshrrev_b16 v3, 4, v6
	v_sub_nc_u16 v15, v64, v9
	s_delay_alu instid0(VALU_DEP_4) | instskip(NEXT) | instid1(VALU_DEP_3)
	v_lshl_add_u32 v143, v7, 3, v65
	v_mul_lo_u16 v48, v3, 25
	s_delay_alu instid0(VALU_DEP_1)
	v_sub_nc_u16 v5, v68, v48
	ds_load_2addr_b64 v[48:51], v130 offset0:116 offset1:241
	v_lshlrev_b16 v69, 5, v5
	v_mad_u16 v5, 0x7d, v3, v5
	s_wait_loadcnt_dscnt 0x502
	v_mul_f32_e32 v62, v11, v39
	v_mul_f32_e32 v63, v10, v39
	s_wait_loadcnt_dscnt 0x301
	v_mul_f32_e32 v71, v42, v33
	s_wait_dscnt 0x0
	v_mul_f32_e32 v75, v48, v29
	v_dual_mul_f32 v74, v49, v29 :: v_dual_mul_f32 v77, v12, v31
	v_fmac_f32_e32 v63, v11, v38
	v_fmac_f32_e32 v71, v43, v32
	s_delay_alu instid0(VALU_DEP_4)
	v_fmac_f32_e32 v75, v49, v28
	v_lshlrev_b32_e32 v67, 5, v1
	v_fmac_f32_e32 v77, v13, v30
	s_wait_loadcnt 0x1
	v_mul_f32_e32 v83, v50, v21
	v_add_f32_e32 v49, v63, v71
	v_mul_f32_e32 v85, v41, v23
	v_sub_f32_e32 v137, v75, v77
	s_delay_alu instid0(VALU_DEP_4)
	v_fmac_f32_e32 v83, v51, v20
	v_lshl_add_u32 v140, v52, 3, v65
	ds_load_2addr_b64 v[52:55], v129 offset0:98 offset1:223
	s_wait_dscnt 0x0
	v_mul_f32_e32 v79, v52, v25
	v_and_b32_e32 v8, 0xffff, v45
	ds_load_2addr_b64 v[44:47], v131 offset0:92 offset1:217
	s_wait_loadcnt 0x0
	v_mul_f32_e32 v87, v55, v17
	v_fmac_f32_e32 v79, v53, v24
	v_mul_u32_u24_e32 v14, 25, v8
	ds_load_2addr_b64 v[6:9], v133 offset0:122 offset1:247
	s_wait_dscnt 0x1
	v_mul_f32_e32 v81, v46, v27
	v_dual_mul_f32 v73, v44, v35 :: v_dual_add_nc_u32 v14, v14, v4
	s_wait_dscnt 0x0
	s_delay_alu instid0(VALU_DEP_2) | instskip(NEXT) | instid1(VALU_DEP_2)
	v_dual_fmac_f32 v81, v47, v26 :: v_dual_mul_f32 v60, v9, v37
	v_lshl_add_u32 v142, v14, 3, v65
	v_mul_f32_e32 v61, v8, v37
	v_dual_fmac_f32 v73, v45, v34 :: v_dual_mul_f32 v88, v54, v17
	s_delay_alu instid0(VALU_DEP_4)
	v_fma_f32 v8, v8, v36, -v60
	v_and_b32_e32 v4, 0xff, v15
	ds_load_2addr_b64 v[56:59], v128 offset1:125
	ds_load_b64 v[14:15], v128 offset:14000
	v_fmac_f32_e32 v61, v9, v36
	v_fma_f32 v9, v10, v38, -v62
	v_mul_f32_e32 v72, v45, v35
	v_mul_f32_e32 v80, v47, v27
	v_dual_mul_f32 v82, v51, v21 :: v_dual_sub_f32 v51, v73, v71
	s_delay_alu instid0(VALU_DEP_4) | instskip(SKIP_1) | instid1(VALU_DEP_3)
	v_dual_sub_f32 v45, v9, v8 :: v_dual_mul_f32 v86, v40, v23
	v_fma_f32 v40, v40, v22, -v85
	v_fma_f32 v11, v50, v20, -v82
	v_add_f32_e32 v155, v7, v83
	v_sub_f32_e32 v145, v79, v81
	global_wb scope:SCOPE_SE
	s_wait_dscnt 0x0
	s_barrier_signal -1
	v_sub_f32_e32 v153, v40, v11
	s_barrier_wait -1
	global_inv scope:SCOPE_SE
	v_dual_add_f32 v47, v57, v61 :: v_dual_mul_f32 v90, v14, v19
	v_mul_f32_e32 v89, v15, v19
	v_add_f32_e32 v93, v59, v75
	s_delay_alu instid0(VALU_DEP_3) | instskip(SKIP_3) | instid1(VALU_DEP_3)
	v_dual_fmac_f32 v90, v15, v18 :: v_dual_sub_f32 v15, v8, v9
	v_fma_f32 v60, v44, v34, -v72
	v_mul_f32_e32 v76, v13, v31
	v_dual_mul_f32 v70, v43, v33 :: v_dual_add_f32 v13, v56, v8
	v_add_f32_e32 v43, v8, v60
	v_fma_f32 v10, v48, v28, -v74
	v_fmac_f32_e32 v88, v55, v16
	v_sub_f32_e32 v55, v8, v60
	v_fma_f32 v12, v12, v30, -v76
	v_mul_f32_e32 v78, v53, v25
	v_fma_f32 v42, v42, v32, -v70
	v_sub_f32_e32 v53, v61, v73
	v_fma_f32 v62, v46, v26, -v80
	v_sub_f32_e32 v85, v10, v12
	v_fma_f32 v44, v52, v24, -v78
	v_fmac_f32_e32 v86, v41, v22
	v_fma_f32 v48, v54, v16, -v87
	v_fma_f32 v70, v14, v18, -v89
	v_add_f32_e32 v14, v9, v42
	v_dual_sub_f32 v41, v60, v42 :: v_dual_sub_f32 v46, v42, v60
	s_delay_alu instid0(VALU_DEP_4)
	v_dual_add_f32 v52, v61, v73 :: v_dual_add_f32 v147, v40, v48
	v_add_f32_e32 v76, v58, v10
	v_dual_add_f32 v78, v12, v44 :: v_dual_add_f32 v89, v10, v62
	v_dual_add_f32 v94, v77, v79 :: v_dual_sub_f32 v157, v11, v70
	v_dual_add_f32 v144, v75, v81 :: v_dual_add_f32 v165, v45, v46
	v_sub_f32_e32 v72, v9, v42
	v_dual_sub_f32 v50, v61, v63 :: v_dual_sub_f32 v95, v10, v62
	v_sub_f32_e32 v61, v63, v61
	v_sub_f32_e32 v74, v71, v73
	v_dual_sub_f32 v82, v77, v79 :: v_dual_sub_f32 v151, v70, v48
	v_dual_sub_f32 v87, v62, v44 :: v_dual_sub_f32 v80, v75, v81
	;; [unrolled: 1-line block ×4, first 2 shown]
	v_sub_f32_e32 v159, v83, v86
	v_sub_f32_e32 v75, v77, v75
	v_dual_add_f32 v146, v6, v11 :: v_dual_add_f32 v161, v83, v90
	v_dual_sub_f32 v148, v83, v90 :: v_dual_add_f32 v163, v13, v9
	v_sub_f32_e32 v150, v11, v40
	v_dual_add_f32 v152, v11, v70 :: v_dual_add_f32 v45, v76, v12
	v_sub_f32_e32 v154, v48, v70
	v_dual_add_f32 v156, v86, v88 :: v_dual_add_f32 v61, v61, v74
	v_sub_f32_e32 v160, v90, v88
	v_dual_sub_f32 v83, v86, v83 :: v_dual_sub_f32 v162, v88, v90
	v_fma_f32 v8, -0.5, v14, v56
	v_add_f32_e32 v164, v15, v41
	v_add_f32_e32 v41, v47, v63
	v_fma_f32 v9, -0.5, v49, v57
	v_dual_add_f32 v49, v146, v40 :: v_dual_sub_f32 v54, v63, v71
	v_sub_f32_e32 v91, v12, v10
	v_fma_f32 v10, -0.5, v43, v56
	v_fma_f32 v11, -0.5, v52, v57
	v_fma_f32 v12, -0.5, v78, v58
	v_fma_f32 v58, -0.5, v89, v58
	v_fma_f32 v13, -0.5, v94, v59
	v_dual_sub_f32 v158, v40, v48 :: v_dual_add_f32 v47, v93, v77
	v_fmac_f32_e32 v59, -0.5, v144
	v_add_f32_e32 v63, v50, v51
	v_add_f32_e32 v77, v137, v138
	v_fma_f32 v14, -0.5, v147, v6
	v_dual_add_f32 v78, v150, v151 :: v_dual_add_f32 v51, v155, v86
	v_fma_f32 v6, -0.5, v152, v6
	v_fma_f32 v15, -0.5, v156, v7
	v_dual_add_f32 v86, v159, v160 :: v_dual_fmac_f32 v7, -0.5, v161
	v_dual_add_f32 v83, v83, v162 :: v_dual_fmamk_f32 v40, v53, 0x3f737871, v8
	v_fmac_f32_e32 v8, 0xbf737871, v53
	v_dual_add_f32 v56, v41, v71 :: v_dual_fmamk_f32 v41, v55, 0xbf737871, v9
	v_dual_add_f32 v52, v163, v42 :: v_dual_fmac_f32 v9, 0x3f737871, v55
	v_fmamk_f32 v42, v54, 0xbf737871, v10
	v_dual_fmac_f32 v10, 0x3f737871, v54 :: v_dual_fmamk_f32 v43, v72, 0x3f737871, v11
	v_fmac_f32_e32 v11, 0xbf737871, v72
	v_dual_add_f32 v57, v45, v44 :: v_dual_fmamk_f32 v44, v80, 0x3f737871, v12
	v_fmamk_f32 v46, v82, 0xbf737871, v58
	v_fmac_f32_e32 v58, 0x3f737871, v82
	v_fmamk_f32 v45, v95, 0xbf737871, v13
	v_fmac_f32_e32 v13, 0x3f737871, v95
	v_dual_fmac_f32 v12, 0xbf737871, v80 :: v_dual_add_f32 v71, v47, v79
	v_fmamk_f32 v47, v135, 0x3f737871, v59
	v_fmac_f32_e32 v59, 0xbf737871, v135
	v_dual_add_f32 v74, v85, v87 :: v_dual_add_f32 v75, v75, v145
	v_dual_add_f32 v79, v49, v48 :: v_dual_fmamk_f32 v48, v148, 0x3f737871, v14
	v_dual_fmac_f32 v14, 0xbf737871, v148 :: v_dual_fmamk_f32 v49, v157, 0xbf737871, v15
	v_dual_fmamk_f32 v50, v149, 0xbf737871, v6 :: v_dual_add_f32 v87, v51, v88
	v_fmac_f32_e32 v6, 0x3f737871, v149
	v_dual_fmac_f32 v15, 0x3f737871, v157 :: v_dual_add_f32 v52, v52, v60
	v_fmamk_f32 v51, v158, 0x3f737871, v7
	v_fmac_f32_e32 v7, 0xbf737871, v158
	v_fmac_f32_e32 v40, 0x3f167918, v54
	v_dual_fmac_f32 v8, 0xbf167918, v54 :: v_dual_fmac_f32 v41, 0xbf167918, v72
	v_dual_fmac_f32 v42, 0x3f167918, v53 :: v_dual_fmac_f32 v9, 0x3f167918, v72
	;; [unrolled: 1-line block ×4, first 2 shown]
	v_dual_add_f32 v76, v91, v92 :: v_dual_add_f32 v85, v153, v154
	v_dual_fmac_f32 v46, 0x3f167918, v80 :: v_dual_fmac_f32 v13, 0x3f167918, v135
	v_dual_fmac_f32 v58, 0xbf167918, v80 :: v_dual_fmac_f32 v45, 0xbf167918, v135
	v_fmac_f32_e32 v47, 0xbf167918, v95
	v_dual_fmac_f32 v59, 0x3f167918, v95 :: v_dual_fmac_f32 v48, 0x3f167918, v149
	v_dual_add_f32 v53, v56, v73 :: v_dual_add_f32 v54, v57, v62
	v_dual_fmac_f32 v12, 0xbf167918, v82 :: v_dual_add_f32 v55, v71, v81
	v_dual_fmac_f32 v14, 0xbf167918, v149 :: v_dual_add_f32 v57, v87, v90
	v_dual_fmac_f32 v50, 0x3f167918, v148 :: v_dual_fmac_f32 v15, 0x3f167918, v158
	v_dual_fmac_f32 v6, 0xbf167918, v148 :: v_dual_fmac_f32 v49, 0xbf167918, v158
	v_fmac_f32_e32 v51, 0xbf167918, v157
	v_fmac_f32_e32 v7, 0x3f167918, v157
	v_dual_fmac_f32 v40, 0x3e9e377a, v164 :: v_dual_fmac_f32 v41, 0x3e9e377a, v63
	v_add_f32_e32 v56, v79, v70
	v_dual_fmac_f32 v42, 0x3e9e377a, v165 :: v_dual_fmac_f32 v47, 0x3e9e377a, v75
	v_dual_fmac_f32 v10, 0x3e9e377a, v165 :: v_dual_fmac_f32 v59, 0x3e9e377a, v75
	;; [unrolled: 1-line block ×11, first 2 shown]
	ds_store_2addr_b64 v143, v[52:53], v[40:41] offset1:5
	ds_store_2addr_b64 v143, v[42:43], v[10:11] offset0:10 offset1:15
	ds_store_b64 v143, v[8:9] offset:160
	ds_store_2addr_b64 v142, v[54:55], v[44:45] offset1:5
	ds_store_2addr_b64 v142, v[46:47], v[58:59] offset0:10 offset1:15
	ds_store_b64 v142, v[12:13] offset:160
	;; [unrolled: 3-line block ×3, first 2 shown]
	global_wb scope:SCOPE_SE
	s_wait_dscnt 0x0
	s_barrier_signal -1
	s_barrier_wait -1
	global_inv scope:SCOPE_SE
	global_load_b128 v[60:63], v67, s[10:11] offset:160
	v_lshlrev_b32_e32 v8, 5, v4
	s_clause 0x1
	global_load_b128 v[56:59], v67, s[10:11] offset:176
	global_load_b128 v[52:55], v8, s[10:11] offset:160
	v_and_b32_e32 v6, 0xffff, v69
	v_and_b32_e32 v2, 0xffff, v2
	s_delay_alu instid0(VALU_DEP_2)
	v_add_co_u32 v6, s2, s10, v6
	s_wait_alu 0xf1ff
	v_add_co_ci_u32_e64 v7, null, s11, 0, s2
	s_clause 0x2
	global_load_b128 v[44:47], v8, s[10:11] offset:176
	global_load_b128 v[48:51], v[6:7], off offset:160
	global_load_b128 v[40:43], v[6:7], off offset:176
	v_mul_u32_u24_e32 v6, 0x625, v66
	ds_load_2addr_b64 v[69:72], v131 offset0:92 offset1:217
	v_mul_u32_u24_e32 v10, 0x7d, v2
	v_and_b32_e32 v5, 0xffff, v5
	ds_load_2addr_b64 v[73:76], v130 offset0:116 offset1:241
	v_lshrrev_b32_e32 v6, 16, v6
	ds_load_2addr_b64 v[77:80], v129 offset0:98 offset1:223
	v_add_nc_u32_e32 v4, v10, v4
	ds_load_2addr_b64 v[10:13], v132 offset0:104 offset1:229
	v_sub_nc_u16 v7, v68, v6
	v_lshl_add_u32 v145, v4, 3, v65
	s_delay_alu instid0(VALU_DEP_2) | instskip(NEXT) | instid1(VALU_DEP_1)
	v_lshrrev_b16 v7, 1, v7
	v_add_nc_u16 v6, v7, v6
	s_delay_alu instid0(VALU_DEP_1) | instskip(NEXT) | instid1(VALU_DEP_1)
	v_lshrrev_b16 v6, 6, v6
	v_mul_lo_u16 v15, 0x7d, v6
	ds_load_2addr_b64 v[6:9], v133 offset0:122 offset1:247
	v_and_b32_e32 v0, 0xffff, v0
	v_lshlrev_b32_e32 v67, 5, v127
	v_sub_nc_u16 v66, v68, v15
	s_delay_alu instid0(VALU_DEP_1)
	v_lshlrev_b16 v81, 5, v66
	s_wait_loadcnt_dscnt 0x500
	v_mul_f32_e32 v15, v8, v61
	v_mul_u32_u24_e32 v0, 0x7d, v0
	s_wait_loadcnt 0x4
	v_mul_f32_e32 v92, v69, v59
	v_lshl_add_u32 v144, v5, 3, v65
	s_delay_alu instid0(VALU_DEP_3)
	v_dual_mul_f32 v91, v70, v59 :: v_dual_add_nc_u32 v14, v0, v1
	ds_load_2addr_b64 v[0:3], v134 offset0:110 offset1:235
	ds_load_2addr_b64 v[85:88], v128 offset1:125
	ds_load_b64 v[4:5], v128 offset:14000
	v_mul_f32_e32 v89, v13, v57
	v_lshl_add_u32 v146, v14, 3, v65
	v_mul_f32_e32 v14, v9, v61
	v_mul_f32_e32 v90, v12, v57
	s_wait_loadcnt 0x2
	v_dual_mul_f32 v93, v74, v53 :: v_dual_mul_f32 v148, v71, v47
	v_mul_f32_e32 v94, v73, v53
	v_mul_f32_e32 v137, v78, v45
	v_dual_mul_f32 v138, v77, v45 :: v_dual_mul_f32 v147, v72, v47
	s_wait_loadcnt 0x1
	v_dual_mul_f32 v149, v76, v49 :: v_dual_mul_f32 v152, v10, v51
	v_mul_f32_e32 v150, v75, v49
	s_wait_loadcnt 0x0
	v_dual_mul_f32 v154, v79, v41 :: v_dual_fmac_f32 v15, v9, v60
	v_dual_mul_f32 v153, v80, v41 :: v_dual_fmac_f32 v92, v70, v58
	v_fma_f32 v8, v8, v60, -v14
	s_wait_dscnt 0x2
	v_mul_f32_e32 v82, v1, v63
	v_mul_f32_e32 v83, v0, v63
	;; [unrolled: 1-line block ×4, first 2 shown]
	v_dual_mul_f32 v151, v11, v51 :: v_dual_fmac_f32 v90, v13, v56
	s_wait_dscnt 0x0
	v_mul_f32_e32 v155, v5, v43
	v_mul_f32_e32 v156, v4, v43
	v_fma_f32 v0, v0, v62, -v82
	v_dual_fmac_f32 v83, v1, v62 :: v_dual_fmac_f32 v94, v74, v52
	v_fma_f32 v12, v12, v56, -v89
	v_fma_f32 v82, v69, v58, -v91
	;; [unrolled: 1-line block ×4, first 2 shown]
	v_dual_fmac_f32 v135, v3, v54 :: v_dual_fmac_f32 v138, v78, v44
	v_fma_f32 v14, v77, v44, -v137
	v_fma_f32 v77, v71, v46, -v147
	v_dual_fmac_f32 v148, v72, v46 :: v_dual_add_f32 v3, v85, v8
	v_fma_f32 v2, v75, v48, -v149
	v_dual_fmac_f32 v150, v76, v48 :: v_dual_add_f32 v73, v83, v90
	v_fmac_f32_e32 v152, v11, v50
	v_fmac_f32_e32 v154, v80, v40
	v_fma_f32 v10, v10, v50, -v151
	v_fma_f32 v71, v79, v40, -v153
	;; [unrolled: 1-line block ×3, first 2 shown]
	v_dual_fmac_f32 v156, v5, v42 :: v_dual_sub_f32 v11, v82, v12
	v_dual_add_f32 v4, v0, v12 :: v_dual_add_f32 v93, v87, v1
	v_dual_sub_f32 v76, v15, v92 :: v_dual_add_f32 v13, v8, v82
	v_dual_sub_f32 v5, v8, v0 :: v_dual_add_f32 v72, v86, v15
	v_sub_f32_e32 v89, v0, v12
	v_dual_sub_f32 v70, v12, v82 :: v_dual_add_f32 v75, v15, v92
	v_dual_sub_f32 v78, v83, v90 :: v_dual_sub_f32 v69, v0, v8
	v_dual_sub_f32 v80, v8, v82 :: v_dual_sub_f32 v91, v90, v92
	v_dual_sub_f32 v8, v15, v83 :: v_dual_add_f32 v95, v9, v14
	v_dual_sub_f32 v74, v92, v90 :: v_dual_sub_f32 v137, v94, v148
	v_sub_f32_e32 v15, v83, v15
	v_dual_sub_f32 v149, v1, v9 :: v_dual_add_f32 v158, v88, v94
	v_dual_sub_f32 v151, v77, v14 :: v_dual_sub_f32 v162, v94, v135
	v_dual_add_f32 v159, v135, v138 :: v_dual_sub_f32 v168, v150, v156
	v_dual_sub_f32 v165, v138, v148 :: v_dual_add_f32 v176, v152, v154
	v_dual_add_f32 v166, v6, v2 :: v_dual_sub_f32 v171, v79, v71
	v_add_f32_e32 v175, v7, v150
	v_dual_add_f32 v153, v1, v77 :: v_dual_add_f32 v164, v94, v148
	v_dual_add_f32 v167, v10, v71 :: v_dual_sub_f32 v180, v156, v154
	v_dual_sub_f32 v147, v135, v138 :: v_dual_sub_f32 v160, v1, v77
	v_dual_sub_f32 v155, v9, v1 :: v_dual_sub_f32 v94, v135, v94
	;; [unrolled: 1-line block ×3, first 2 shown]
	v_dual_sub_f32 v161, v9, v14 :: v_dual_add_f32 v172, v2, v79
	v_dual_sub_f32 v163, v148, v138 :: v_dual_sub_f32 v178, v10, v71
	v_dual_sub_f32 v170, v2, v10 :: v_dual_add_f32 v183, v3, v0
	v_dual_sub_f32 v173, v10, v2 :: v_dual_add_f32 v184, v5, v11
	v_sub_f32_e32 v177, v2, v79
	v_add_f32_e32 v11, v72, v83
	v_fma_f32 v0, -0.5, v4, v85
	v_fma_f32 v1, -0.5, v73, v86
	v_fma_f32 v2, -0.5, v13, v85
	v_add_f32_e32 v181, v150, v156
	v_fma_f32 v3, -0.5, v75, v86
	v_sub_f32_e32 v179, v150, v152
	v_dual_add_f32 v83, v8, v74 :: v_dual_add_f32 v94, v94, v165
	v_dual_add_f32 v85, v15, v91 :: v_dual_add_f32 v72, v166, v10
	v_fma_f32 v4, -0.5, v95, v87
	v_add_f32_e32 v86, v149, v151
	v_dual_add_f32 v15, v93, v9 :: v_dual_add_f32 v74, v175, v152
	v_fma_f32 v5, -0.5, v159, v88
	v_fma_f32 v9, -0.5, v176, v7
	v_dual_add_f32 v185, v69, v70 :: v_dual_add_f32 v70, v158, v135
	v_fma_f32 v87, -0.5, v153, v87
	v_fmac_f32_e32 v88, -0.5, v164
	v_fma_f32 v8, -0.5, v167, v6
	v_dual_sub_f32 v169, v152, v154 :: v_dual_sub_f32 v182, v154, v156
	v_add_f32_e32 v93, v162, v163
	v_dual_add_f32 v95, v170, v171 :: v_dual_add_f32 v90, v11, v90
	v_fma_f32 v6, -0.5, v172, v6
	v_add_f32_e32 v135, v173, v174
	v_dual_add_f32 v75, v183, v12 :: v_dual_fmamk_f32 v10, v76, 0x3f737871, v0
	v_fmac_f32_e32 v0, 0xbf737871, v76
	v_fmamk_f32 v12, v78, 0xbf737871, v2
	v_dual_fmac_f32 v2, 0x3f737871, v78 :: v_dual_fmac_f32 v7, -0.5, v181
	v_dual_add_f32 v138, v70, v138 :: v_dual_fmamk_f32 v11, v80, 0xbf737871, v1
	v_fmamk_f32 v13, v89, 0x3f737871, v3
	v_fmac_f32_e32 v3, 0xbf737871, v89
	v_dual_fmac_f32 v1, 0x3f737871, v80 :: v_dual_fmamk_f32 v70, v161, 0x3f737871, v88
	v_dual_sub_f32 v150, v152, v150 :: v_dual_add_f32 v149, v179, v180
	v_dual_add_f32 v151, v15, v14 :: v_dual_fmamk_f32 v14, v137, 0x3f737871, v4
	v_dual_add_f32 v152, v72, v71 :: v_dual_add_f32 v153, v74, v154
	v_fmamk_f32 v72, v177, 0xbf737871, v9
	v_fmamk_f32 v15, v160, 0xbf737871, v5
	;; [unrolled: 1-line block ×3, first 2 shown]
	v_fmac_f32_e32 v87, 0x3f737871, v147
	v_fmac_f32_e32 v5, 0x3f737871, v160
	;; [unrolled: 1-line block ×3, first 2 shown]
	v_dual_fmamk_f32 v71, v168, 0x3f737871, v8 :: v_dual_fmamk_f32 v74, v178, 0x3f737871, v7
	v_fmac_f32_e32 v8, 0xbf737871, v168
	v_fmac_f32_e32 v9, 0x3f737871, v177
	;; [unrolled: 1-line block ×3, first 2 shown]
	v_fmamk_f32 v73, v169, 0xbf737871, v6
	v_fmac_f32_e32 v6, 0x3f737871, v169
	v_fmac_f32_e32 v7, 0xbf737871, v178
	v_dual_fmac_f32 v10, 0x3f167918, v78 :: v_dual_fmac_f32 v1, 0x3f167918, v89
	v_dual_fmac_f32 v0, 0xbf167918, v78 :: v_dual_fmac_f32 v11, 0xbf167918, v89
	v_dual_add_f32 v75, v75, v82 :: v_dual_fmac_f32 v12, 0x3f167918, v76
	v_dual_fmac_f32 v2, 0xbf167918, v76 :: v_dual_add_f32 v77, v151, v77
	v_dual_fmac_f32 v13, 0xbf167918, v80 :: v_dual_fmac_f32 v4, 0xbf167918, v147
	v_dual_fmac_f32 v3, 0x3f167918, v80 :: v_dual_fmac_f32 v14, 0x3f167918, v147
	v_dual_add_f32 v80, v153, v156 :: v_dual_fmac_f32 v15, 0xbf167918, v161
	v_dual_fmac_f32 v6, 0xbf167918, v168 :: v_dual_add_f32 v91, v155, v157
	v_add_f32_e32 v150, v150, v182
	v_dual_add_f32 v76, v90, v92 :: v_dual_fmac_f32 v69, 0x3f167918, v137
	v_fmac_f32_e32 v88, 0x3f167918, v160
	v_dual_add_f32 v78, v138, v148 :: v_dual_fmac_f32 v87, 0xbf167918, v137
	v_fmac_f32_e32 v70, 0xbf167918, v160
	v_fmac_f32_e32 v5, 0x3f167918, v161
	v_dual_add_f32 v79, v152, v79 :: v_dual_fmac_f32 v8, 0xbf167918, v169
	v_fmac_f32_e32 v9, 0x3f167918, v178
	v_fmac_f32_e32 v71, 0x3f167918, v169
	;; [unrolled: 1-line block ×6, first 2 shown]
	v_dual_fmac_f32 v10, 0x3e9e377a, v184 :: v_dual_fmac_f32 v11, 0x3e9e377a, v83
	v_dual_fmac_f32 v12, 0x3e9e377a, v185 :: v_dual_fmac_f32 v69, 0x3e9e377a, v91
	;; [unrolled: 1-line block ×9, first 2 shown]
	global_wb scope:SCOPE_SE
	s_barrier_signal -1
	s_barrier_wait -1
	global_inv scope:SCOPE_SE
	v_dual_fmac_f32 v6, 0x3e9e377a, v135 :: v_dual_fmac_f32 v7, 0x3e9e377a, v150
	v_lshlrev_b32_e32 v83, 4, v127
	v_dual_fmac_f32 v71, 0x3e9e377a, v95 :: v_dual_fmac_f32 v72, 0x3e9e377a, v149
	v_lshlrev_b32_e32 v95, 4, v64
	v_dual_fmac_f32 v73, 0x3e9e377a, v135 :: v_dual_fmac_f32 v74, 0x3e9e377a, v150
	ds_store_2addr_b64 v146, v[75:76], v[10:11] offset1:25
	ds_store_2addr_b64 v146, v[12:13], v[2:3] offset0:50 offset1:75
	ds_store_b64 v146, v[0:1] offset:800
	ds_store_2addr_b64 v145, v[77:78], v[14:15] offset1:25
	ds_store_2addr_b64 v145, v[69:70], v[87:88] offset0:50 offset1:75
	ds_store_b64 v145, v[4:5] offset:800
	;; [unrolled: 3-line block ×3, first 2 shown]
	global_wb scope:SCOPE_SE
	s_wait_dscnt 0x0
	s_barrier_signal -1
	s_barrier_wait -1
	global_inv scope:SCOPE_SE
	s_clause 0x1
	global_load_b128 v[8:11], v67, s[10:11] offset:960
	global_load_b128 v[4:7], v67, s[10:11] offset:976
	v_and_b32_e32 v0, 0xffff, v81
	s_delay_alu instid0(VALU_DEP_1)
	v_add_co_u32 v0, s2, s10, v0
	s_wait_alu 0xf1ff
	v_add_co_ci_u32_e64 v1, null, s11, 0, s2
	s_clause 0x1
	global_load_b128 v[12:15], v[0:1], off offset:960
	global_load_b128 v[0:3], v[0:1], off offset:976
	ds_load_2addr_b64 v[69:72], v133 offset0:122 offset1:247
	ds_load_2addr_b64 v[73:76], v134 offset0:110 offset1:235
	;; [unrolled: 1-line block ×3, first 2 shown]
	v_and_b32_e32 v66, 0xffff, v66
	ds_load_2addr_b64 v[85:88], v131 offset0:92 offset1:217
	ds_load_2addr_b64 v[89:92], v130 offset0:116 offset1:241
	s_add_nc_u64 s[2:3], s[8:9], 0x3a98
	s_wait_loadcnt_dscnt 0x304
	v_mul_f32_e32 v93, v72, v9
	v_lshl_add_u32 v135, v66, 3, v65
	ds_load_2addr_b64 v[64:67], v129 offset0:98 offset1:223
	ds_load_2addr_b64 v[147:150], v128 offset1:125
	ds_load_b64 v[81:82], v128 offset:14000
	s_wait_dscnt 0x6
	v_dual_mul_f32 v94, v71, v9 :: v_dual_mul_f32 v151, v74, v11
	s_wait_loadcnt_dscnt 0x205
	v_dual_mul_f32 v153, v80, v5 :: v_dual_add_nc_u32 v138, 0x2c00, v135
	v_mul_f32_e32 v152, v73, v11
	s_wait_dscnt 0x4
	v_dual_mul_f32 v154, v79, v5 :: v_dual_mul_f32 v155, v86, v7
	v_dual_fmac_f32 v94, v72, v8 :: v_dual_add_nc_u32 v137, 0x2400, v135
	s_wait_loadcnt_dscnt 0x103
	v_mul_f32_e32 v166, v91, v13
	v_mul_f32_e32 v156, v85, v7
	;; [unrolled: 1-line block ×7, first 2 shown]
	v_dual_mul_f32 v163, v88, v7 :: v_dual_fmac_f32 v156, v86, v6
	s_wait_dscnt 0x2
	v_dual_mul_f32 v161, v65, v5 :: v_dual_fmac_f32 v152, v74, v10
	v_mul_f32_e32 v162, v64, v5
	v_mul_f32_e32 v164, v87, v7
	v_dual_mul_f32 v167, v78, v15 :: v_dual_fmac_f32 v154, v80, v4
	s_wait_loadcnt 0x0
	v_dual_mul_f32 v168, v77, v15 :: v_dual_mul_f32 v169, v67, v1
	v_fmac_f32_e32 v160, v76, v10
	v_mul_f32_e32 v170, v66, v1
	s_wait_dscnt 0x0
	v_dual_mul_f32 v171, v82, v3 :: v_dual_fmac_f32 v162, v65, v4
	v_mul_f32_e32 v172, v81, v3
	v_fma_f32 v71, v71, v8, -v93
	v_fma_f32 v72, v73, v10, -v151
	;; [unrolled: 1-line block ×4, first 2 shown]
	v_fmac_f32_e32 v158, v90, v8
	v_fma_f32 v80, v64, v4, -v161
	v_fma_f32 v64, v91, v12, -v165
	v_fmac_f32_e32 v166, v92, v12
	v_fma_f32 v73, v89, v8, -v157
	v_fma_f32 v74, v75, v10, -v159
	v_fma_f32 v151, v87, v6, -v163
	v_dual_fmac_f32 v164, v88, v6 :: v_dual_add_f32 v65, v147, v71
	v_fma_f32 v75, v77, v14, -v167
	v_fmac_f32_e32 v168, v78, v14
	v_fma_f32 v85, v66, v0, -v169
	v_dual_fmac_f32 v170, v67, v0 :: v_dual_sub_f32 v89, v152, v154
	v_fma_f32 v153, v81, v2, -v171
	v_dual_fmac_f32 v172, v82, v2 :: v_dual_sub_f32 v81, v79, v93
	v_dual_add_f32 v66, v72, v79 :: v_dual_sub_f32 v91, v94, v156
	v_dual_sub_f32 v67, v71, v72 :: v_dual_sub_f32 v76, v93, v79
	v_dual_add_f32 v77, v71, v93 :: v_dual_add_f32 v82, v148, v94
	v_dual_add_f32 v159, v74, v80 :: v_dual_add_f32 v86, v152, v154
	v_dual_sub_f32 v161, v158, v164 :: v_dual_sub_f32 v78, v72, v71
	v_add_f32_e32 v157, v149, v73
	v_dual_sub_f32 v92, v71, v93 :: v_dual_sub_f32 v155, v72, v79
	v_sub_f32_e32 v71, v94, v152
	v_dual_sub_f32 v87, v156, v154 :: v_dual_add_f32 v88, v94, v156
	v_dual_add_f32 v181, v69, v64 :: v_dual_add_f32 v190, v70, v166
	v_dual_add_f32 v169, v73, v151 :: v_dual_add_f32 v174, v150, v158
	v_dual_sub_f32 v171, v74, v73 :: v_dual_sub_f32 v176, v73, v151
	v_dual_sub_f32 v173, v80, v151 :: v_dual_add_f32 v182, v75, v85
	v_dual_add_f32 v175, v160, v162 :: v_dual_sub_f32 v186, v153, v85
	v_dual_add_f32 v179, v158, v164 :: v_dual_sub_f32 v184, v168, v170
	v_dual_sub_f32 v90, v152, v94 :: v_dual_sub_f32 v167, v151, v80
	v_dual_sub_f32 v94, v154, v156 :: v_dual_sub_f32 v163, v160, v162
	;; [unrolled: 1-line block ×7, first 2 shown]
	v_add_f32_e32 v187, v64, v153
	v_dual_add_f32 v191, v168, v170 :: v_dual_sub_f32 v196, v170, v172
	v_sub_f32_e32 v193, v166, v168
	v_dual_sub_f32 v195, v168, v166 :: v_dual_add_f32 v198, v65, v72
	v_dual_add_f32 v166, v166, v172 :: v_dual_sub_f32 v197, v75, v85
	v_dual_add_f32 v199, v67, v76 :: v_dual_add_f32 v200, v78, v81
	v_add_f32_e32 v76, v82, v152
	v_fma_f32 v64, -0.5, v66, v147
	v_fma_f32 v65, -0.5, v86, v148
	;; [unrolled: 1-line block ×3, first 2 shown]
	v_add_f32_e32 v152, v71, v87
	v_fma_f32 v67, -0.5, v88, v148
	v_dual_add_f32 v86, v190, v168 :: v_dual_add_f32 v87, v181, v75
	v_dual_add_f32 v81, v157, v74 :: v_dual_add_f32 v82, v174, v160
	v_fma_f32 v71, -0.5, v159, v149
	v_fma_f32 v149, -0.5, v169, v149
	v_add_f32_e32 v157, v171, v173
	v_fma_f32 v72, -0.5, v175, v150
	v_dual_fmac_f32 v150, -0.5, v179 :: v_dual_add_f32 v147, v90, v94
	v_add_f32_e32 v148, v165, v167
	v_dual_add_f32 v159, v73, v178 :: v_dual_add_f32 v158, v158, v180
	v_fma_f32 v73, -0.5, v182, v69
	v_fma_f32 v69, -0.5, v187, v69
	;; [unrolled: 1-line block ×3, first 2 shown]
	v_fmac_f32_e32 v70, -0.5, v166
	v_dual_add_f32 v90, v198, v79 :: v_dual_fmamk_f32 v75, v91, 0x3f737871, v64
	v_dual_fmamk_f32 v77, v89, 0xbf737871, v66 :: v_dual_add_f32 v94, v76, v154
	v_dual_fmamk_f32 v76, v92, 0xbf737871, v65 :: v_dual_add_f32 v169, v86, v170
	v_fmac_f32_e32 v64, 0xbf737871, v91
	v_dual_fmac_f32 v66, 0x3f737871, v89 :: v_dual_fmamk_f32 v79, v161, 0x3f737871, v71
	v_fmac_f32_e32 v65, 0x3f737871, v92
	v_fmamk_f32 v78, v155, 0x3f737871, v67
	v_dual_fmac_f32 v67, 0xbf737871, v155 :: v_dual_add_f32 v154, v81, v80
	v_add_f32_e32 v168, v87, v85
	v_dual_add_f32 v162, v82, v162 :: v_dual_fmamk_f32 v81, v163, 0xbf737871, v149
	v_fmamk_f32 v80, v176, 0xbf737871, v72
	v_fmamk_f32 v82, v177, 0x3f737871, v150
	v_fmac_f32_e32 v71, 0xbf737871, v161
	v_dual_fmac_f32 v149, 0x3f737871, v163 :: v_dual_fmac_f32 v72, 0x3f737871, v176
	v_dual_fmac_f32 v150, 0xbf737871, v177 :: v_dual_fmamk_f32 v87, v184, 0xbf737871, v69
	v_dual_sub_f32 v189, v85, v153 :: v_dual_sub_f32 v194, v172, v170
	v_fmamk_f32 v85, v183, 0x3f737871, v73
	v_fmac_f32_e32 v73, 0xbf737871, v183
	v_fmac_f32_e32 v69, 0x3f737871, v184
	v_fmamk_f32 v86, v192, 0xbf737871, v74
	v_fmac_f32_e32 v74, 0x3f737871, v192
	v_fmamk_f32 v88, v197, 0x3f737871, v70
	v_fmac_f32_e32 v70, 0xbf737871, v197
	v_fmac_f32_e32 v75, 0x3f167918, v89
	v_dual_fmac_f32 v76, 0xbf167918, v155 :: v_dual_fmac_f32 v73, 0xbf167918, v184
	v_dual_fmac_f32 v64, 0xbf167918, v89 :: v_dual_fmac_f32 v71, 0xbf167918, v163
	v_add_f32_e32 v89, v90, v93
	v_fmac_f32_e32 v77, 0x3f167918, v91
	v_dual_fmac_f32 v66, 0xbf167918, v91 :: v_dual_fmac_f32 v149, 0xbf167918, v161
	v_dual_fmac_f32 v65, 0x3f167918, v155 :: v_dual_fmac_f32 v72, 0x3f167918, v177
	;; [unrolled: 1-line block ×3, first 2 shown]
	v_add_f32_e32 v93, v168, v153
	v_dual_fmac_f32 v67, 0x3f167918, v92 :: v_dual_fmac_f32 v74, 0x3f167918, v197
	v_dual_fmac_f32 v79, 0x3f167918, v163 :: v_dual_fmac_f32 v150, 0x3f167918, v176
	v_fmac_f32_e32 v81, 0x3f167918, v161
	v_fmac_f32_e32 v80, 0xbf167918, v177
	v_fmac_f32_e32 v82, 0xbf167918, v176
	v_dual_add_f32 v160, v185, v186 :: v_dual_add_f32 v165, v188, v189
	v_dual_add_f32 v167, v193, v194 :: v_dual_add_f32 v166, v195, v196
	v_add_f32_e32 v90, v94, v156
	v_add_f32_e32 v91, v154, v151
	v_fmac_f32_e32 v85, 0x3f167918, v184
	v_dual_fmac_f32 v87, 0x3f167918, v183 :: v_dual_fmac_f32 v70, 0x3f167918, v192
	v_fmac_f32_e32 v86, 0xbf167918, v197
	v_fmac_f32_e32 v88, 0xbf167918, v192
	v_dual_fmac_f32 v75, 0x3e9e377a, v199 :: v_dual_fmac_f32 v66, 0x3e9e377a, v200
	v_dual_fmac_f32 v76, 0x3e9e377a, v152 :: v_dual_fmac_f32 v67, 0x3e9e377a, v147
	v_add_f32_e32 v92, v162, v164
	v_dual_fmac_f32 v64, 0x3e9e377a, v199 :: v_dual_fmac_f32 v77, 0x3e9e377a, v200
	v_dual_fmac_f32 v65, 0x3e9e377a, v152 :: v_dual_fmac_f32 v78, 0x3e9e377a, v147
	v_add_f32_e32 v94, v169, v172
	v_dual_fmac_f32 v79, 0x3e9e377a, v148 :: v_dual_fmac_f32 v80, 0x3e9e377a, v159
	v_dual_fmac_f32 v81, 0x3e9e377a, v157 :: v_dual_fmac_f32 v82, 0x3e9e377a, v158
	;; [unrolled: 1-line block ×4, first 2 shown]
	global_wb scope:SCOPE_SE
	s_barrier_signal -1
	s_barrier_wait -1
	global_inv scope:SCOPE_SE
	v_dual_fmac_f32 v85, 0x3e9e377a, v160 :: v_dual_fmac_f32 v86, 0x3e9e377a, v167
	v_dual_fmac_f32 v73, 0x3e9e377a, v160 :: v_dual_fmac_f32 v74, 0x3e9e377a, v167
	v_dual_fmac_f32 v87, 0x3e9e377a, v165 :: v_dual_fmac_f32 v88, 0x3e9e377a, v166
	v_dual_fmac_f32 v69, 0x3e9e377a, v165 :: v_dual_fmac_f32 v70, 0x3e9e377a, v166
	ds_store_2addr_b64 v128, v[89:90], v[75:76] offset1:125
	ds_store_2addr_b64 v133, v[77:78], v[66:67] offset0:122 offset1:247
	ds_store_2addr_b64 v130, v[64:65], v[91:92] offset0:116 offset1:241
	ds_store_2addr_b64 v134, v[79:80], v[81:82] offset0:110 offset1:235
	ds_store_2addr_b64 v132, v[149:150], v[71:72] offset0:104 offset1:229
	ds_store_2addr_b64 v137, v[93:94], v[85:86] offset0:98 offset1:223
	ds_store_2addr_b64 v138, v[87:88], v[69:70] offset0:92 offset1:217
	ds_store_b64 v135, v[73:74] offset:14000
	global_wb scope:SCOPE_SE
	s_wait_dscnt 0x0
	s_barrier_signal -1
	s_barrier_wait -1
	global_inv scope:SCOPE_SE
	global_load_b128 v[64:67], v83, s[10:11] offset:4960
	v_lshlrev_b32_e32 v72, 4, v68
	v_add_nc_u32_e32 v76, 0x1770, v83
	global_load_b128 v[68:71], v95, s[10:11] offset:4960
	v_add_nc_u32_e32 v77, 0x1f40, v83
	s_clause 0x2
	global_load_b128 v[72:75], v72, s[10:11] offset:4960
	global_load_b128 v[80:83], v76, s[10:11] offset:4960
	;; [unrolled: 1-line block ×3, first 2 shown]
	ds_load_2addr_b64 v[85:88], v130 offset0:116 offset1:241
	ds_load_2addr_b64 v[89:92], v129 offset0:98 offset1:223
	;; [unrolled: 1-line block ×5, first 2 shown]
	ds_load_2addr_b64 v[160:163], v128 offset1:125
	ds_load_b64 v[93:94], v128 offset:14000
	ds_load_2addr_b64 v[164:167], v133 offset0:122 offset1:247
	s_wait_loadcnt_dscnt 0x406
	v_dual_mul_f32 v170, v89, v67 :: v_dual_add_nc_u32 v147, 0x2800, v128
	v_dual_mul_f32 v168, v87, v65 :: v_dual_mul_f32 v169, v90, v67
	v_mul_f32_e32 v95, v88, v65
	s_wait_loadcnt_dscnt 0x305
	v_mul_f32_e32 v171, v149, v69
	v_mul_f32_e32 v172, v148, v69
	;; [unrolled: 1-line block ×3, first 2 shown]
	s_wait_loadcnt 0x2
	v_mul_f32_e32 v175, v151, v73
	s_wait_dscnt 0x4
	v_mul_f32_e32 v177, v153, v75
	s_wait_loadcnt_dscnt 0x3
	v_dual_mul_f32 v178, v152, v75 :: v_dual_mul_f32 v183, v159, v77
	v_fma_f32 v89, v89, v66, -v169
	v_fmac_f32_e32 v170, v90, v66
	v_fmac_f32_e32 v168, v88, v64
	v_mul_f32_e32 v174, v91, v71
	v_mul_f32_e32 v182, v154, v83
	s_wait_dscnt 0x1
	v_dual_mul_f32 v180, v156, v81 :: v_dual_mul_f32 v185, v94, v79
	v_mul_f32_e32 v181, v155, v83
	v_fma_f32 v90, v91, v70, -v173
	v_fma_f32 v91, v148, v68, -v171
	;; [unrolled: 1-line block ×4, first 2 shown]
	v_fmac_f32_e32 v172, v149, v68
	v_fma_f32 v148, v158, v76, -v183
	v_dual_add_f32 v149, v161, v168 :: v_dual_fmac_f32 v182, v155, v82
	v_sub_f32_e32 v155, v168, v170
	v_fmac_f32_e32 v174, v92, v70
	v_fma_f32 v92, v150, v72, -v175
	v_mul_f32_e32 v176, v150, v73
	v_mul_f32_e32 v179, v157, v81
	v_fmac_f32_e32 v178, v153, v74
	v_fma_f32 v152, v93, v78, -v185
	v_sub_f32_e32 v175, v92, v95
	v_add_f32_e32 v153, v162, v91
	v_add_f32_e32 v169, v92, v95
	v_mul_f32_e32 v186, v93, v79
	v_dual_add_f32 v93, v160, v87 :: v_dual_fmac_f32 v176, v151, v72
	v_fma_f32 v88, v156, v80, -v179
	v_fmac_f32_e32 v180, v157, v80
	v_fma_f32 v150, v154, v82, -v181
	v_sub_f32_e32 v157, v172, v174
	v_fmac_f32_e32 v186, v94, v78
	v_dual_add_f32 v94, v87, v89 :: v_dual_add_f32 v185, v85, v148
	s_delay_alu instid0(VALU_DEP_4) | instskip(SKIP_4) | instid1(VALU_DEP_3)
	v_dual_add_f32 v177, v88, v150 :: v_dual_sub_f32 v156, v87, v89
	v_add_f32_e32 v87, v93, v89
	v_dual_mul_f32 v184, v158, v77 :: v_dual_add_f32 v151, v168, v170
	v_dual_add_f32 v154, v91, v90 :: v_dual_add_f32 v187, v148, v152
	v_dual_add_f32 v158, v163, v172 :: v_dual_sub_f32 v183, v88, v150
	v_dual_fmac_f32 v184, v159, v76 :: v_dual_add_f32 v159, v172, v174
	v_add_f32_e32 v173, v176, v178
	v_sub_f32_e32 v168, v91, v90
	v_sub_f32_e32 v171, v176, v178
	s_delay_alu instid0(VALU_DEP_4)
	v_add_f32_e32 v189, v86, v184
	v_sub_f32_e32 v179, v180, v182
	s_wait_dscnt 0x0
	v_dual_add_f32 v181, v167, v180 :: v_dual_add_f32 v180, v180, v182
	v_dual_fmac_f32 v163, -0.5, v159 :: v_dual_sub_f32 v188, v184, v186
	v_fma_f32 v93, -0.5, v94, v160
	v_add_f32_e32 v184, v184, v186
	v_fma_f32 v94, -0.5, v151, v161
	v_add_f32_e32 v91, v164, v92
	v_add_f32_e32 v172, v165, v176
	v_dual_add_f32 v176, v166, v88 :: v_dual_add_f32 v89, v153, v90
	v_dual_sub_f32 v190, v148, v152 :: v_dual_add_f32 v151, v181, v182
	v_add_f32_e32 v88, v149, v170
	v_fma_f32 v162, -0.5, v154, v162
	v_fma_f32 v148, -0.5, v169, v164
	;; [unrolled: 1-line block ×4, first 2 shown]
	v_fmac_f32_e32 v167, -0.5, v180
	v_fma_f32 v85, -0.5, v187, v85
	v_fmamk_f32 v154, v155, 0x3f5db3d7, v93
	v_fmac_f32_e32 v93, 0xbf5db3d7, v155
	v_dual_add_f32 v153, v189, v186 :: v_dual_fmac_f32 v86, -0.5, v184
	v_fmamk_f32 v155, v156, 0xbf5db3d7, v94
	v_fmac_f32_e32 v94, 0x3f5db3d7, v156
	v_add_f32_e32 v90, v158, v174
	v_dual_add_f32 v150, v176, v150 :: v_dual_fmamk_f32 v159, v175, 0xbf5db3d7, v149
	v_fmamk_f32 v156, v157, 0x3f5db3d7, v162
	v_dual_fmac_f32 v162, 0xbf5db3d7, v157 :: v_dual_fmamk_f32 v161, v183, 0xbf5db3d7, v167
	v_fmamk_f32 v157, v168, 0xbf5db3d7, v163
	v_fmamk_f32 v158, v171, 0x3f5db3d7, v148
	v_dual_add_f32 v91, v91, v95 :: v_dual_add_f32 v92, v172, v178
	v_fmac_f32_e32 v163, 0x3f5db3d7, v168
	v_dual_add_f32 v152, v185, v152 :: v_dual_fmac_f32 v149, 0x3f5db3d7, v175
	v_fmac_f32_e32 v148, 0xbf5db3d7, v171
	v_fmamk_f32 v160, v179, 0x3f5db3d7, v166
	v_fmac_f32_e32 v166, 0xbf5db3d7, v179
	v_fmac_f32_e32 v167, 0x3f5db3d7, v183
	v_fmamk_f32 v164, v188, 0x3f5db3d7, v85
	v_fmamk_f32 v165, v190, 0xbf5db3d7, v86
	v_fmac_f32_e32 v85, 0xbf5db3d7, v188
	v_fmac_f32_e32 v86, 0x3f5db3d7, v190
	ds_store_b64 v128, v[154:155] offset:5000
	ds_store_b64 v128, v[93:94] offset:10000
	ds_store_2addr_b64 v128, v[87:88], v[89:90] offset1:125
	ds_store_2addr_b64 v134, v[156:157], v[158:159] offset0:110 offset1:235
	ds_store_2addr_b64 v147, v[162:163], v[148:149] offset0:95 offset1:220
	;; [unrolled: 1-line block ×3, first 2 shown]
	ds_store_b64 v128, v[166:167] offset:13000
	ds_store_b64 v128, v[152:153] offset:4000
	ds_store_2addr_b64 v132, v[160:161], v[164:165] offset0:104 offset1:229
	ds_store_b64 v128, v[85:86] offset:14000
	global_wb scope:SCOPE_SE
	s_wait_dscnt 0x0
	s_barrier_signal -1
	s_barrier_wait -1
	global_inv scope:SCOPE_SE
	s_clause 0xe
	global_load_b64 v[164:165], v84, s[8:9] offset:15000
	global_load_b64 v[166:167], v84, s[2:3] offset:1000
	global_load_b64 v[168:169], v84, s[2:3] offset:6000
	global_load_b64 v[170:171], v84, s[2:3] offset:7000
	global_load_b64 v[172:173], v84, s[2:3] offset:12000
	global_load_b64 v[174:175], v84, s[2:3] offset:13000
	global_load_b64 v[176:177], v84, s[2:3] offset:3000
	global_load_b64 v[178:179], v84, s[2:3] offset:4000
	global_load_b64 v[180:181], v84, s[2:3] offset:2000
	global_load_b64 v[182:183], v84, s[2:3] offset:8000
	global_load_b64 v[184:185], v84, s[2:3] offset:5000
	global_load_b64 v[186:187], v84, s[2:3] offset:9000
	global_load_b64 v[188:189], v84, s[2:3] offset:10000
	global_load_b64 v[190:191], v84, s[2:3] offset:11000
	global_load_b64 v[192:193], v84, s[2:3] offset:14000
	ds_load_2addr_b64 v[84:87], v128 offset1:125
	ds_load_2addr_b64 v[88:91], v134 offset0:110 offset1:235
	ds_load_2addr_b64 v[92:95], v131 offset0:92 offset1:217
	;; [unrolled: 1-line block ×6, first 2 shown]
	ds_load_b64 v[194:195], v128 offset:14000
	s_load_b64 s[2:3], s[0:1], 0x38
	s_mov_b32 s0, 0x9cbd821e
	s_mov_b32 s1, 0x3f4179ec
	s_wait_loadcnt_dscnt 0xe07
	v_mul_f32_e32 v196, v85, v165
	s_wait_loadcnt 0xd
	v_dual_mul_f32 v197, v84, v165 :: v_dual_mul_f32 v198, v87, v167
	v_mul_f32_e32 v165, v86, v167
	s_wait_loadcnt_dscnt 0xc06
	v_mul_f32_e32 v199, v89, v169
	s_wait_loadcnt 0xb
	v_dual_mul_f32 v167, v88, v169 :: v_dual_mul_f32 v200, v91, v171
	v_fmac_f32_e32 v197, v85, v164
	v_mul_f32_e32 v169, v90, v171
	s_wait_loadcnt_dscnt 0xa05
	v_mul_f32_e32 v201, v93, v173
	v_mul_f32_e32 v171, v92, v173
	s_wait_loadcnt 0x9
	v_mul_f32_e32 v85, v94, v175
	v_fma_f32 v196, v84, v164, -v196
	v_mul_f32_e32 v84, v95, v175
	v_fma_f32 v164, v86, v166, -v198
	s_wait_loadcnt_dscnt 0x804
	v_mul_f32_e32 v86, v151, v177
	s_wait_loadcnt 0x6
	v_dual_fmac_f32 v165, v87, v166 :: v_dual_mul_f32 v198, v149, v181
	v_mul_f32_e32 v87, v150, v177
	v_mul_f32_e32 v173, v148, v181
	s_wait_dscnt 0x3
	v_mul_f32_e32 v181, v153, v179
	v_fma_f32 v166, v88, v168, -v199
	v_fmac_f32_e32 v167, v89, v168
	v_mul_f32_e32 v89, v152, v179
	s_wait_loadcnt 0x4
	v_mul_f32_e32 v199, v155, v185
	v_fma_f32 v168, v90, v170, -v200
	v_fmac_f32_e32 v169, v91, v170
	v_mul_f32_e32 v91, v154, v185
	v_fma_f32 v170, v92, v172, -v201
	v_fmac_f32_e32 v171, v93, v172
	s_wait_loadcnt_dscnt 0x201
	v_mul_f32_e32 v92, v161, v189
	v_fma_f32 v84, v94, v174, -v84
	v_mul_f32_e32 v93, v160, v189
	v_fmac_f32_e32 v85, v95, v174
	s_wait_loadcnt 0x1
	v_mul_f32_e32 v94, v163, v191
	v_mul_f32_e32 v95, v162, v191
	;; [unrolled: 1-line block ×6, first 2 shown]
	s_wait_loadcnt_dscnt 0x0
	v_mul_f32_e32 v183, v195, v193
	v_mul_f32_e32 v179, v194, v193
	v_fma_f32 v86, v150, v176, -v86
	v_fmac_f32_e32 v87, v151, v176
	v_fma_f32 v172, v148, v180, -v198
	v_fmac_f32_e32 v173, v149, v180
	;; [unrolled: 2-line block ×9, first 2 shown]
	ds_store_2addr_b64 v128, v[196:197], v[164:165] offset1:125
	ds_store_2addr_b64 v134, v[166:167], v[168:169] offset0:110 offset1:235
	ds_store_2addr_b64 v131, v[170:171], v[84:85] offset0:92 offset1:217
	;; [unrolled: 1-line block ×6, first 2 shown]
	ds_store_b64 v128, v[178:179] offset:14000
	global_wb scope:SCOPE_SE
	s_wait_dscnt 0x0
	s_wait_kmcnt 0x0
	s_barrier_signal -1
	s_barrier_wait -1
	global_inv scope:SCOPE_SE
	ds_load_2addr_b64 v[84:87], v128 offset1:125
	ds_load_2addr_b64 v[88:91], v133 offset0:122 offset1:247
	ds_load_2addr_b64 v[148:151], v134 offset0:110 offset1:235
	ds_load_2addr_b64 v[92:95], v132 offset0:104 offset1:229
	ds_load_2addr_b64 v[152:155], v130 offset0:116 offset1:241
	ds_load_2addr_b64 v[156:159], v129 offset0:98 offset1:223
	ds_load_2addr_b64 v[160:163], v131 offset0:92 offset1:217
	ds_load_b64 v[164:165], v128 offset:14000
	global_wb scope:SCOPE_SE
	s_wait_dscnt 0x0
	s_barrier_signal -1
	s_barrier_wait -1
	global_inv scope:SCOPE_SE
	v_add_f32_e32 v166, v84, v90
	v_sub_f32_e32 v170, v148, v90
	v_dual_add_f32 v167, v148, v94 :: v_dual_add_f32 v176, v86, v152
	v_sub_f32_e32 v169, v90, v148
	v_add_f32_e32 v177, v150, v156
	v_add_f32_e32 v188, v90, v160
	v_sub_f32_e32 v190, v90, v160
	v_add_f32_e32 v90, v88, v154
	v_sub_f32_e32 v168, v149, v95
	v_dual_add_f32 v171, v85, v91 :: v_dual_sub_f32 v208, v154, v164
	v_dual_sub_f32 v173, v148, v94 :: v_dual_sub_f32 v174, v91, v149
	v_dual_sub_f32 v175, v149, v91 :: v_dual_sub_f32 v178, v151, v157
	v_sub_f32_e32 v180, v150, v152
	v_sub_f32_e32 v184, v153, v151
	;; [unrolled: 1-line block ×3, first 2 shown]
	v_add_f32_e32 v192, v91, v161
	v_sub_f32_e32 v194, v153, v163
	v_add_f32_e32 v196, v152, v162
	v_sub_f32_e32 v198, v152, v162
	v_add_f32_e32 v200, v92, v158
	v_dual_sub_f32 v202, v154, v92 :: v_dual_sub_f32 v203, v92, v154
	v_dual_sub_f32 v205, v92, v158 :: v_dual_add_f32 v166, v166, v148
	v_dual_sub_f32 v148, v164, v158 :: v_dual_add_f32 v209, v90, v92
	v_fma_f32 v90, -0.5, v167, v84
	v_fma_f32 v84, -0.5, v188, v84
	v_add_f32_e32 v91, v89, v155
	v_dual_sub_f32 v179, v152, v150 :: v_dual_sub_f32 v152, v163, v157
	v_fma_f32 v92, -0.5, v177, v86
	v_add_f32_e32 v172, v149, v95
	s_delay_alu instid0(VALU_DEP_4)
	v_add_f32_e32 v210, v91, v93
	v_dual_add_f32 v182, v151, v157 :: v_dual_sub_f32 v195, v162, v156
	v_dual_add_f32 v188, v209, v158 :: v_dual_add_f32 v171, v171, v149
	v_sub_f32_e32 v149, v158, v164
	v_dual_add_f32 v177, v184, v152 :: v_dual_fmamk_f32 v152, v194, 0xbf737871, v92
	v_sub_f32_e32 v191, v161, v95
	v_sub_f32_e32 v189, v94, v160
	;; [unrolled: 1-line block ×4, first 2 shown]
	v_add_f32_e32 v204, v93, v159
	v_dual_sub_f32 v206, v155, v93 :: v_dual_add_f32 v207, v154, v164
	v_dual_add_f32 v154, v155, v165 :: v_dual_sub_f32 v183, v150, v156
	v_add_f32_e32 v150, v176, v150
	v_sub_f32_e32 v176, v93, v155
	v_fma_f32 v93, -0.5, v182, v87
	v_dual_add_f32 v182, v203, v149 :: v_dual_add_f32 v167, v174, v191
	v_add_f32_e32 v164, v188, v164
	v_dual_add_f32 v174, v179, v195 :: v_dual_sub_f32 v187, v160, v94
	v_add_f32_e32 v170, v170, v189
	v_add_f32_e32 v181, v87, v153
	v_sub_f32_e32 v185, v151, v153
	v_sub_f32_e32 v197, v156, v162
	v_dual_add_f32 v153, v153, v163 :: v_dual_add_f32 v166, v166, v94
	v_add_f32_e32 v169, v169, v187
	v_sub_f32_e32 v187, v159, v165
	v_sub_f32_e32 v199, v157, v163
	v_fma_f32 v91, -0.5, v172, v85
	v_fma_f32 v86, -0.5, v196, v86
	v_fmamk_f32 v94, v186, 0xbf737871, v90
	v_fmac_f32_e32 v90, 0x3f737871, v186
	v_add_f32_e32 v176, v176, v187
	v_add_f32_e32 v172, v175, v193
	s_delay_alu instid0(VALU_DEP_4)
	v_dual_add_f32 v175, v180, v197 :: v_dual_fmac_f32 v94, 0xbf167918, v168
	v_dual_add_f32 v180, v202, v148 :: v_dual_add_f32 v151, v181, v151
	v_fma_f32 v148, -0.5, v200, v88
	v_fma_f32 v88, -0.5, v207, v88
	v_sub_f32_e32 v181, v155, v165
	v_sub_f32_e32 v155, v165, v159
	v_fma_f32 v85, -0.5, v192, v85
	v_dual_fmac_f32 v87, -0.5, v153 :: v_dual_fmac_f32 v90, 0x3f167918, v168
	v_fma_f32 v149, -0.5, v204, v89
	s_delay_alu instid0(VALU_DEP_4)
	v_add_f32_e32 v184, v206, v155
	v_dual_add_f32 v179, v185, v199 :: v_dual_fmac_f32 v152, 0xbf167918, v178
	v_dual_add_f32 v185, v150, v156 :: v_dual_fmamk_f32 v150, v168, 0x3f737871, v84
	v_fmac_f32_e32 v84, 0xbf737871, v168
	v_fmamk_f32 v158, v201, 0x3f737871, v88
	v_dual_fmamk_f32 v156, v181, 0xbf737871, v148 :: v_dual_fmac_f32 v89, -0.5, v154
	v_dual_fmac_f32 v92, 0x3f737871, v194 :: v_dual_add_f32 v171, v171, v95
	v_fmamk_f32 v95, v190, 0x3f737871, v91
	v_fmamk_f32 v154, v178, 0x3f737871, v86
	v_dual_fmac_f32 v86, 0xbf737871, v178 :: v_dual_add_f32 v187, v151, v157
	v_fmamk_f32 v151, v173, 0xbf737871, v85
	v_fmac_f32_e32 v85, 0x3f737871, v173
	v_fmac_f32_e32 v91, 0xbf737871, v190
	v_fmamk_f32 v153, v198, 0x3f737871, v93
	v_fmac_f32_e32 v93, 0xbf737871, v198
	v_fmamk_f32 v155, v183, 0xbf737871, v87
	v_dual_fmac_f32 v87, 0x3f737871, v183 :: v_dual_fmac_f32 v148, 0x3f737871, v181
	v_dual_add_f32 v189, v210, v159 :: v_dual_fmac_f32 v88, 0xbf737871, v201
	v_fmamk_f32 v157, v208, 0x3f737871, v149
	v_fmac_f32_e32 v149, 0xbf737871, v208
	v_fmac_f32_e32 v156, 0xbf167918, v201
	v_fmamk_f32 v159, v205, 0xbf737871, v89
	v_fmac_f32_e32 v89, 0x3f737871, v205
	v_fmac_f32_e32 v95, 0x3f167918, v173
	v_fmac_f32_e32 v150, 0xbf167918, v186
	v_fmac_f32_e32 v84, 0x3f167918, v186
	v_dual_fmac_f32 v151, 0x3f167918, v190 :: v_dual_fmac_f32 v88, 0x3f167918, v181
	v_fmac_f32_e32 v85, 0xbf167918, v190
	v_dual_fmac_f32 v91, 0xbf167918, v173 :: v_dual_fmac_f32 v154, 0xbf167918, v194
	v_dual_fmac_f32 v153, 0x3f167918, v183 :: v_dual_fmac_f32 v92, 0x3f167918, v178
	v_dual_fmac_f32 v86, 0x3f167918, v194 :: v_dual_add_f32 v163, v187, v163
	v_dual_fmac_f32 v158, 0xbf167918, v181 :: v_dual_fmac_f32 v93, 0xbf167918, v183
	v_fmac_f32_e32 v155, 0x3f167918, v198
	v_fmac_f32_e32 v87, 0xbf167918, v198
	;; [unrolled: 1-line block ×7, first 2 shown]
	v_dual_add_f32 v160, v166, v160 :: v_dual_add_f32 v161, v171, v161
	v_fmac_f32_e32 v150, 0x3e9e377a, v170
	v_dual_fmac_f32 v94, 0x3e9e377a, v169 :: v_dual_fmac_f32 v95, 0x3e9e377a, v167
	v_dual_add_f32 v165, v189, v165 :: v_dual_fmac_f32 v84, 0x3e9e377a, v170
	v_dual_fmac_f32 v151, 0x3e9e377a, v172 :: v_dual_fmac_f32 v152, 0x3e9e377a, v174
	v_dual_fmac_f32 v85, 0x3e9e377a, v172 :: v_dual_fmac_f32 v92, 0x3e9e377a, v174
	;; [unrolled: 1-line block ×3, first 2 shown]
	v_add_f32_e32 v162, v185, v162
	v_dual_fmac_f32 v154, 0x3e9e377a, v175 :: v_dual_fmac_f32 v153, 0x3e9e377a, v177
	v_dual_fmac_f32 v86, 0x3e9e377a, v175 :: v_dual_fmac_f32 v93, 0x3e9e377a, v177
	;; [unrolled: 1-line block ×6, first 2 shown]
	v_fmac_f32_e32 v89, 0x3e9e377a, v176
	v_fmac_f32_e32 v159, 0x3e9e377a, v176
	ds_store_2addr_b64 v136, v[160:161], v[94:95] offset1:1
	ds_store_2addr_b64 v136, v[150:151], v[84:85] offset0:2 offset1:3
	ds_store_b64 v136, v[90:91] offset:32
	ds_store_2addr_b64 v141, v[162:163], v[152:153] offset1:1
	ds_store_2addr_b64 v141, v[154:155], v[86:87] offset0:2 offset1:3
	ds_store_b64 v141, v[92:93] offset:32
	ds_store_b64 v139, v[148:149] offset:32
	ds_store_2addr_b64 v139, v[164:165], v[156:157] offset1:1
	ds_store_2addr_b64 v139, v[158:159], v[88:89] offset0:2 offset1:3
	global_wb scope:SCOPE_SE
	s_wait_dscnt 0x0
	s_barrier_signal -1
	s_barrier_wait -1
	global_inv scope:SCOPE_SE
	ds_load_2addr_b64 v[84:87], v133 offset0:122 offset1:247
	ds_load_2addr_b64 v[92:95], v134 offset0:110 offset1:235
	;; [unrolled: 1-line block ×6, first 2 shown]
	ds_load_2addr_b64 v[88:91], v128 offset1:125
	ds_load_b64 v[164:165], v128 offset:14000
	global_wb scope:SCOPE_SE
	s_wait_dscnt 0x0
	s_barrier_signal -1
	s_barrier_wait -1
	global_inv scope:SCOPE_SE
	v_mul_f32_e32 v136, v37, v87
	v_mul_f32_e32 v168, v31, v95
	;; [unrolled: 1-line block ×3, first 2 shown]
	v_dual_mul_f32 v170, v27, v155 :: v_dual_mul_f32 v167, v29, v157
	v_mul_f32_e32 v173, v17, v163
	v_dual_mul_f32 v29, v29, v156 :: v_dual_mul_f32 v174, v19, v165
	s_delay_alu instid0(VALU_DEP_4) | instskip(NEXT) | instid1(VALU_DEP_3)
	v_fmac_f32_e32 v172, v22, v148
	v_dual_mul_f32 v166, v35, v153 :: v_dual_fmac_f32 v173, v16, v162
	s_delay_alu instid0(VALU_DEP_3) | instskip(SKIP_1) | instid1(VALU_DEP_3)
	v_dual_mul_f32 v171, v21, v159 :: v_dual_fmac_f32 v174, v18, v164
	v_mul_f32_e32 v17, v17, v162
	v_dual_mul_f32 v19, v19, v164 :: v_dual_sub_f32 v182, v172, v173
	s_delay_alu instid0(VALU_DEP_3)
	v_fmac_f32_e32 v171, v20, v158
	v_mul_f32_e32 v169, v25, v161
	v_dual_mul_f32 v25, v25, v160 :: v_dual_sub_f32 v176, v174, v173
	v_fmac_f32_e32 v168, v30, v94
	v_fmac_f32_e32 v170, v26, v154
	v_sub_f32_e32 v178, v172, v171
	v_fmac_f32_e32 v169, v24, v160
	v_sub_f32_e32 v179, v173, v174
	v_fmac_f32_e32 v167, v28, v156
	v_mul_f32_e32 v37, v37, v86
	v_mul_f32_e32 v141, v33, v151
	;; [unrolled: 1-line block ×3, first 2 shown]
	v_fma_f32 v28, v28, v157, -v29
	v_mul_f32_e32 v31, v31, v94
	v_mul_f32_e32 v139, v39, v93
	v_dual_mul_f32 v35, v35, v152 :: v_dual_add_f32 v164, v172, v173
	v_fmac_f32_e32 v136, v36, v86
	v_fmac_f32_e32 v166, v34, v152
	v_fma_f32 v29, v30, v95, -v31
	v_fma_f32 v31, v24, v161, -v25
	v_mul_f32_e32 v39, v39, v92
	v_dual_add_f32 v95, v90, v167 :: v_dual_add_f32 v152, v167, v170
	v_dual_fmac_f32 v141, v32, v150 :: v_dual_sub_f32 v150, v167, v168
	v_fma_f32 v36, v36, v87, -v37
	v_fma_f32 v87, v18, v165, -v19
	v_dual_mul_f32 v21, v21, v158 :: v_dual_sub_f32 v158, v168, v169
	v_fma_f32 v32, v32, v151, -v33
	v_fma_f32 v33, v16, v163, -v17
	v_add_f32_e32 v156, v29, v31
	v_fma_f32 v37, v38, v93, -v39
	v_add_f32_e32 v16, v88, v136
	s_delay_alu instid0(VALU_DEP_4) | instskip(SKIP_3) | instid1(VALU_DEP_3)
	v_sub_f32_e32 v184, v87, v33
	v_fma_f32 v20, v20, v159, -v21
	v_mul_f32_e32 v27, v27, v154
	v_sub_f32_e32 v154, v169, v170
	v_add_f32_e32 v180, v85, v20
	s_delay_alu instid0(VALU_DEP_3)
	v_fma_f32 v39, v26, v155, -v27
	v_sub_f32_e32 v27, v36, v37
	v_fmac_f32_e32 v139, v38, v92
	v_fma_f32 v38, v34, v153, -v35
	v_sub_f32_e32 v92, v37, v32
	v_add_f32_e32 v26, v37, v32
	v_sub_f32_e32 v160, v39, v31
	s_delay_alu instid0(VALU_DEP_4)
	v_dual_add_f32 v185, v20, v87 :: v_dual_sub_f32 v30, v38, v32
	v_sub_f32_e32 v86, v36, v38
	v_add_f32_e32 v34, v36, v38
	v_add_f32_e32 v161, v28, v39
	v_sub_f32_e32 v162, v31, v39
	v_add_f32_e32 v190, v27, v30
	v_sub_f32_e32 v18, v136, v139
	v_dual_add_f32 v30, v95, v168 :: v_dual_sub_f32 v19, v166, v141
	v_mul_f32_e32 v23, v23, v148
	v_add_f32_e32 v17, v139, v141
	v_sub_f32_e32 v94, v139, v141
	v_sub_f32_e32 v24, v141, v166
	v_add_f32_e32 v188, v18, v19
	v_fma_f32 v23, v22, v149, -v23
	v_dual_sub_f32 v22, v139, v136 :: v_dual_add_f32 v139, v16, v139
	v_add_f32_e32 v21, v136, v166
	v_fma_f32 v16, -0.5, v17, v88
	v_fma_f32 v17, -0.5, v26, v89
	v_dual_sub_f32 v183, v20, v23 :: v_dual_sub_f32 v186, v23, v20
	s_delay_alu instid0(VALU_DEP_4) | instskip(SKIP_3) | instid1(VALU_DEP_4)
	v_fma_f32 v18, -0.5, v21, v88
	v_add_f32_e32 v25, v89, v36
	v_sub_f32_e32 v93, v136, v166
	v_dual_add_f32 v136, v168, v169 :: v_dual_add_f32 v189, v22, v24
	v_fmamk_f32 v26, v92, 0x3f737871, v18
	v_sub_f32_e32 v165, v20, v87
	v_fma_f32 v22, -0.5, v164, v84
	s_delay_alu instid0(VALU_DEP_4)
	v_fma_f32 v20, -0.5, v136, v90
	v_fma_f32 v90, -0.5, v152, v90
	v_dual_fmac_f32 v26, 0xbf167918, v86 :: v_dual_sub_f32 v149, v29, v31
	v_sub_f32_e32 v187, v33, v87
	v_add_f32_e32 v152, v178, v179
	v_dual_sub_f32 v153, v168, v167 :: v_dual_fmamk_f32 v24, v86, 0xbf737871, v16
	v_sub_f32_e32 v157, v167, v170
	v_sub_f32_e32 v167, v23, v33
	;; [unrolled: 1-line block ×3, first 2 shown]
	v_dual_add_f32 v25, v25, v37 :: v_dual_fmac_f32 v16, 0x3f737871, v86
	v_dual_sub_f32 v148, v28, v39 :: v_dual_sub_f32 v35, v37, v36
	v_sub_f32_e32 v36, v32, v38
	s_delay_alu instid0(VALU_DEP_4) | instskip(NEXT) | instid1(VALU_DEP_4)
	v_dual_add_f32 v136, v159, v160 :: v_dual_add_f32 v163, v84, v171
	v_dual_fmac_f32 v16, 0x3f167918, v92 :: v_dual_add_f32 v95, v153, v154
	v_add_f32_e32 v154, v186, v187
	v_sub_f32_e32 v151, v170, v169
	v_add_f32_e32 v37, v25, v32
	v_fmamk_f32 v32, v165, 0xbf737871, v22
	v_dual_fmac_f32 v22, 0x3f737871, v165 :: v_dual_add_f32 v177, v171, v174
	v_fma_f32 v19, -0.5, v34, v89
	v_fmac_f32_e32 v18, 0xbf737871, v92
	v_sub_f32_e32 v175, v171, v172
	v_fmac_f32_e32 v24, 0xbf167918, v92
	v_fma_f32 v84, -0.5, v177, v84
	v_add_f32_e32 v155, v91, v28
	v_dual_sub_f32 v28, v29, v28 :: v_dual_add_f32 v89, v150, v151
	s_delay_alu instid0(VALU_DEP_4) | instskip(SKIP_2) | instid1(VALU_DEP_4)
	v_fmac_f32_e32 v24, 0x3e9e377a, v188
	v_add_f32_e32 v34, v163, v172
	v_fmac_f32_e32 v18, 0x3f167918, v86
	v_add_f32_e32 v150, v28, v162
	v_fmamk_f32 v28, v148, 0xbf737871, v20
	v_add_f32_e32 v88, v35, v36
	v_add_f32_e32 v36, v139, v141
	v_fmac_f32_e32 v16, 0x3e9e377a, v188
	v_fma_f32 v21, -0.5, v156, v91
	v_dual_fmac_f32 v20, 0x3f737871, v148 :: v_dual_fmamk_f32 v25, v93, 0x3f737871, v17
	s_delay_alu instid0(VALU_DEP_4)
	v_add_f32_e32 v36, v36, v166
	v_dual_fmac_f32 v32, 0xbf167918, v167 :: v_dual_add_f32 v151, v175, v176
	v_fmac_f32_e32 v26, 0x3e9e377a, v189
	v_dual_fmac_f32 v22, 0x3f167918, v167 :: v_dual_add_f32 v139, v30, v169
	v_dual_fmamk_f32 v30, v149, 0x3f737871, v90 :: v_dual_add_f32 v181, v23, v33
	v_dual_add_f32 v35, v180, v23 :: v_dual_fmac_f32 v18, 0x3e9e377a, v189
	v_fmac_f32_e32 v90, 0xbf737871, v149
	s_delay_alu instid0(VALU_DEP_3) | instskip(SKIP_2) | instid1(VALU_DEP_4)
	v_dual_fmac_f32 v30, 0xbf167918, v148 :: v_dual_add_f32 v29, v155, v29
	v_dual_add_f32 v155, v34, v173 :: v_dual_fmamk_f32 v34, v167, 0x3f737871, v84
	v_dual_fmac_f32 v84, 0xbf737871, v167 :: v_dual_sub_f32 v171, v171, v174
	v_fmac_f32_e32 v90, 0x3f167918, v148
	v_fma_f32 v23, -0.5, v181, v85
	v_add_f32_e32 v156, v35, v33
	s_delay_alu instid0(VALU_DEP_4) | instskip(NEXT) | instid1(VALU_DEP_4)
	v_fmac_f32_e32 v84, 0x3f167918, v165
	v_dual_fmac_f32 v91, -0.5, v161 :: v_dual_fmac_f32 v90, 0x3e9e377a, v95
	v_fmamk_f32 v27, v94, 0xbf737871, v19
	v_fmac_f32_e32 v19, 0x3f737871, v94
	s_delay_alu instid0(VALU_DEP_4)
	v_fmac_f32_e32 v84, 0x3e9e377a, v152
	v_dual_add_f32 v86, v155, v174 :: v_dual_fmac_f32 v85, -0.5, v185
	v_fmac_f32_e32 v32, 0x3e9e377a, v151
	v_fmac_f32_e32 v17, 0xbf737871, v93
	;; [unrolled: 1-line block ×4, first 2 shown]
	v_add_f32_e32 v141, v29, v31
	v_fmamk_f32 v29, v157, 0x3f737871, v21
	v_fmamk_f32 v31, v158, 0xbf737871, v91
	v_fmac_f32_e32 v91, 0x3f737871, v158
	v_fmamk_f32 v33, v171, 0x3f737871, v23
	v_fmamk_f32 v35, v182, 0xbf737871, v85
	v_fmac_f32_e32 v85, 0x3f737871, v182
	v_fmac_f32_e32 v20, 0x3f167918, v149
	;; [unrolled: 1-line block ×7, first 2 shown]
	v_dual_fmac_f32 v17, 0xbf167918, v94 :: v_dual_fmac_f32 v28, 0xbf167918, v149
	v_fmac_f32_e32 v29, 0x3f167918, v158
	v_fmac_f32_e32 v31, 0x3f167918, v157
	v_fmac_f32_e32 v91, 0xbf167918, v157
	v_fmac_f32_e32 v33, 0x3f167918, v182
	v_fmac_f32_e32 v35, 0x3f167918, v171
	v_fmac_f32_e32 v85, 0xbf167918, v171
	v_dual_fmac_f32 v20, 0x3e9e377a, v89 :: v_dual_add_f32 v37, v37, v38
	v_fmac_f32_e32 v22, 0x3e9e377a, v151
	v_add_f32_e32 v38, v139, v170
	v_dual_add_f32 v153, v183, v184 :: v_dual_fmac_f32 v28, 0x3e9e377a, v89
	v_fmac_f32_e32 v21, 0xbf167918, v158
	v_fmac_f32_e32 v23, 0xbf167918, v182
	;; [unrolled: 1-line block ×7, first 2 shown]
	v_dual_fmac_f32 v34, 0x3e9e377a, v152 :: v_dual_add_f32 v39, v141, v39
	v_add_f32_e32 v87, v156, v87
	v_fmac_f32_e32 v31, 0x3e9e377a, v150
	v_fmac_f32_e32 v91, 0x3e9e377a, v150
	;; [unrolled: 1-line block ×7, first 2 shown]
	ds_store_2addr_b64 v143, v[36:37], v[24:25] offset1:5
	ds_store_2addr_b64 v143, v[26:27], v[18:19] offset0:10 offset1:15
	ds_store_b64 v143, v[16:17] offset:160
	ds_store_2addr_b64 v142, v[38:39], v[28:29] offset1:5
	ds_store_2addr_b64 v142, v[30:31], v[90:91] offset0:10 offset1:15
	ds_store_b64 v142, v[20:21] offset:160
	;; [unrolled: 3-line block ×3, first 2 shown]
	global_wb scope:SCOPE_SE
	s_wait_dscnt 0x0
	s_barrier_signal -1
	s_barrier_wait -1
	global_inv scope:SCOPE_SE
	ds_load_2addr_b64 v[16:19], v133 offset0:122 offset1:247
	ds_load_2addr_b64 v[26:29], v134 offset0:110 offset1:235
	;; [unrolled: 1-line block ×6, first 2 shown]
	ds_load_2addr_b64 v[20:23], v128 offset1:125
	ds_load_b64 v[38:39], v128 offset:14000
	global_wb scope:SCOPE_SE
	s_wait_dscnt 0x0
	s_barrier_signal -1
	s_barrier_wait -1
	global_inv scope:SCOPE_SE
	v_mad_co_u64_u32 v[24:25], null, s6, v126, 0
	v_mul_f32_e32 v92, v61, v19
	v_dual_mul_f32 v143, v51, v31 :: v_dual_mul_f32 v94, v57, v33
	v_mul_f32_e32 v142, v49, v87
	v_mul_f32_e32 v148, v41, v91
	;; [unrolled: 1-line block ×3, first 2 shown]
	v_dual_mul_f32 v149, v43, v39 :: v_dual_fmac_f32 v92, v60, v18
	v_mul_f32_e32 v95, v59, v35
	v_mul_f32_e32 v51, v51, v30
	s_delay_alu instid0(VALU_DEP_4) | instskip(SKIP_4) | instid1(VALU_DEP_4)
	v_fma_f32 v41, v40, v91, -v41
	v_dual_mul_f32 v93, v63, v27 :: v_dual_fmac_f32 v142, v48, v86
	v_fmac_f32_e32 v143, v50, v30
	v_fmac_f32_e32 v148, v40, v90
	;; [unrolled: 1-line block ×3, first 2 shown]
	v_dual_fmac_f32 v93, v62, v26 :: v_dual_add_f32 v30, v20, v92
	v_mul_f32_e32 v57, v57, v32
	v_dual_mul_f32 v59, v59, v34 :: v_dual_mul_f32 v140, v45, v89
	v_dual_fmac_f32 v94, v56, v32 :: v_dual_fmac_f32 v95, v58, v34
	v_dual_sub_f32 v152, v142, v143 :: v_dual_sub_f32 v153, v149, v148
	v_dual_mul_f32 v45, v45, v88 :: v_dual_add_f32 v30, v30, v93
	v_mul_f32_e32 v141, v47, v37
	v_mul_f32_e32 v47, v47, v36
	;; [unrolled: 1-line block ×4, first 2 shown]
	v_fma_f32 v33, v56, v33, -v57
	v_fma_f32 v56, v58, v35, -v59
	;; [unrolled: 1-line block ×3, first 2 shown]
	v_fmac_f32_e32 v141, v46, v36
	v_fma_f32 v45, v46, v37, -v47
	v_sub_f32_e32 v32, v92, v93
	v_dual_add_f32 v36, v92, v95 :: v_dual_sub_f32 v37, v93, v92
	v_sub_f32_e32 v38, v94, v95
	v_sub_f32_e32 v46, v92, v95
	v_dual_add_f32 v92, v16, v142 :: v_dual_mul_f32 v139, v55, v29
	v_mul_f32_e32 v61, v61, v18
	s_delay_alu instid0(VALU_DEP_4) | instskip(SKIP_1) | instid1(VALU_DEP_4)
	v_add_f32_e32 v165, v37, v38
	v_mul_f32_e32 v136, v53, v85
	v_dual_add_f32 v38, v92, v143 :: v_dual_fmac_f32 v139, v54, v28
	v_mul_f32_e32 v55, v55, v28
	v_fma_f32 v28, v48, v87, -v49
	v_dual_mul_f32 v63, v63, v26 :: v_dual_add_f32 v154, v142, v149
	v_dual_sub_f32 v155, v143, v142 :: v_dual_sub_f32 v142, v142, v149
	v_fma_f32 v18, v60, v19, -v61
	s_delay_alu instid0(VALU_DEP_3)
	v_fma_f32 v19, v62, v27, -v63
	v_fma_f32 v27, v54, v29, -v55
	;; [unrolled: 1-line block ×3, first 2 shown]
	v_fmac_f32_e32 v136, v52, v84
	v_fmac_f32_e32 v140, v44, v88
	v_sub_f32_e32 v34, v95, v94
	v_add_f32_e32 v31, v93, v94
	v_sub_f32_e32 v151, v29, v41
	v_sub_f32_e32 v91, v35, v45
	v_mul_f32_e32 v53, v53, v84
	v_sub_f32_e32 v48, v93, v94
	v_dual_add_f32 v54, v139, v140 :: v_dual_add_f32 v93, v32, v34
	v_add_f32_e32 v60, v136, v141
	s_delay_alu instid0(VALU_DEP_4) | instskip(SKIP_2) | instid1(VALU_DEP_2)
	v_fma_f32 v26, v52, v85, -v53
	v_dual_add_f32 v53, v22, v136 :: v_dual_sub_f32 v44, v19, v33
	v_dual_sub_f32 v49, v56, v33 :: v_dual_add_f32 v84, v27, v35
	v_dual_add_f32 v63, v23, v26 :: v_dual_add_f32 v34, v53, v139
	v_sub_f32_e32 v55, v26, v45
	v_dual_add_f32 v89, v26, v45 :: v_dual_sub_f32 v90, v27, v26
	s_delay_alu instid0(VALU_DEP_3) | instskip(NEXT) | instid1(VALU_DEP_4)
	v_add_f32_e32 v37, v63, v27
	v_add_f32_e32 v63, v34, v140
	v_sub_f32_e32 v87, v26, v27
	v_fma_f32 v26, -0.5, v54, v22
	v_fma_f32 v22, -0.5, v60, v22
	v_dual_add_f32 v50, v18, v56 :: v_dual_sub_f32 v51, v19, v18
	v_add_f32_e32 v40, v19, v33
	s_delay_alu instid0(VALU_DEP_4)
	v_fmamk_f32 v34, v55, 0xbf737871, v26
	v_fmac_f32_e32 v26, 0x3f737871, v55
	v_fma_f32 v47, v42, v39, -v43
	v_sub_f32_e32 v42, v18, v19
	v_sub_f32_e32 v88, v45, v35
	v_dual_add_f32 v157, v17, v28 :: v_dual_sub_f32 v160, v28, v29
	s_delay_alu instid0(VALU_DEP_4)
	v_sub_f32_e32 v150, v28, v47
	v_sub_f32_e32 v57, v27, v35
	;; [unrolled: 1-line block ×3, first 2 shown]
	v_add_f32_e32 v49, v42, v49
	v_fma_f32 v27, -0.5, v84, v23
	v_add_f32_e32 v42, v30, v94
	v_add_f32_e32 v39, v21, v18
	v_fma_f32 v18, -0.5, v31, v20
	v_fma_f32 v20, -0.5, v36, v20
	v_fmamk_f32 v36, v57, 0x3f737871, v22
	v_add_f32_e32 v42, v42, v95
	v_dual_sub_f32 v58, v136, v139 :: v_dual_sub_f32 v61, v139, v136
	v_fmac_f32_e32 v22, 0xbf737871, v57
	v_dual_sub_f32 v85, v136, v141 :: v_dual_add_f32 v84, v37, v35
	v_add_f32_e32 v136, v143, v148
	v_dual_add_f32 v162, v28, v47 :: v_dual_sub_f32 v163, v29, v28
	v_fmamk_f32 v32, v44, 0x3f737871, v20
	v_sub_f32_e32 v52, v33, v56
	s_delay_alu instid0(VALU_DEP_4) | instskip(SKIP_3) | instid1(VALU_DEP_4)
	v_fma_f32 v28, -0.5, v136, v16
	v_fma_f32 v16, -0.5, v154, v16
	v_dual_sub_f32 v62, v140, v141 :: v_dual_add_f32 v53, v87, v88
	v_add_f32_e32 v87, v38, v148
	v_fmamk_f32 v38, v150, 0xbf737871, v28
	v_fmac_f32_e32 v28, 0x3f737871, v150
	v_fmamk_f32 v30, v43, 0xbf737871, v18
	v_fmac_f32_e32 v18, 0x3f737871, v43
	v_fmac_f32_e32 v32, 0xbf167918, v43
	;; [unrolled: 1-line block ×3, first 2 shown]
	v_add_f32_e32 v31, v39, v19
	v_fma_f32 v19, -0.5, v40, v21
	v_fmamk_f32 v40, v151, 0x3f737871, v16
	v_fma_f32 v21, -0.5, v50, v21
	v_fmac_f32_e32 v18, 0x3f167918, v44
	v_add_f32_e32 v50, v51, v52
	v_fmac_f32_e32 v20, 0xbf737871, v44
	v_fmac_f32_e32 v40, 0xbf167918, v150
	v_fmac_f32_e32 v34, 0xbf167918, v57
	v_add_f32_e32 v52, v61, v62
	s_delay_alu instid0(VALU_DEP_4) | instskip(SKIP_2) | instid1(VALU_DEP_4)
	v_dual_sub_f32 v59, v141, v140 :: v_dual_fmac_f32 v20, 0x3f167918, v43
	v_fmac_f32_e32 v16, 0xbf737871, v151
	v_sub_f32_e32 v156, v148, v149
	v_fmac_f32_e32 v36, 0x3e9e377a, v52
	v_dual_add_f32 v62, v31, v33 :: v_dual_fmamk_f32 v33, v48, 0xbf737871, v21
	v_dual_fmac_f32 v21, 0x3f737871, v48 :: v_dual_add_f32 v158, v29, v41
	v_fmamk_f32 v31, v46, 0x3f737871, v19
	v_fmac_f32_e32 v19, 0xbf737871, v46
	v_fmac_f32_e32 v30, 0xbf167918, v44
	;; [unrolled: 1-line block ×5, first 2 shown]
	v_add_f32_e32 v46, v87, v149
	v_fmac_f32_e32 v16, 0x3f167918, v150
	v_fmac_f32_e32 v38, 0xbf167918, v151
	v_dual_add_f32 v51, v58, v59 :: v_dual_add_f32 v58, v152, v153
	v_sub_f32_e32 v86, v139, v140
	v_fmac_f32_e32 v22, 0x3f167918, v55
	v_dual_fmac_f32 v28, 0x3f167918, v151 :: v_dual_add_f32 v59, v155, v156
	s_delay_alu instid0(VALU_DEP_4) | instskip(SKIP_2) | instid1(VALU_DEP_4)
	v_dual_fmac_f32 v23, -0.5, v89 :: v_dual_fmac_f32 v38, 0x3e9e377a, v58
	v_fmac_f32_e32 v26, 0x3e9e377a, v51
	v_fmac_f32_e32 v20, 0x3e9e377a, v165
	v_dual_fmac_f32 v16, 0x3e9e377a, v59 :: v_dual_sub_f32 v159, v143, v148
	v_fmac_f32_e32 v18, 0x3e9e377a, v93
	v_fmac_f32_e32 v30, 0x3e9e377a, v93
	v_add_f32_e32 v39, v157, v29
	v_fma_f32 v29, -0.5, v158, v17
	v_fmac_f32_e32 v17, -0.5, v162
	v_fmamk_f32 v35, v85, 0x3f737871, v27
	v_dual_sub_f32 v161, v47, v41 :: v_dual_fmac_f32 v34, 0x3e9e377a, v51
	v_dual_sub_f32 v164, v41, v47 :: v_dual_fmac_f32 v27, 0xbf737871, v85
	v_fmamk_f32 v37, v86, 0xbf737871, v23
	v_dual_fmac_f32 v23, 0x3f737871, v86 :: v_dual_add_f32 v88, v39, v41
	v_fmamk_f32 v39, v142, 0x3f737871, v29
	v_fmac_f32_e32 v29, 0xbf737871, v142
	v_fmamk_f32 v41, v159, 0xbf737871, v17
	v_fmac_f32_e32 v17, 0x3f737871, v159
	v_fmac_f32_e32 v31, 0x3f167918, v48
	v_fmac_f32_e32 v19, 0xbf167918, v48
	v_dual_fmac_f32 v35, 0x3f167918, v86 :: v_dual_add_f32 v54, v90, v91
	v_dual_add_f32 v60, v160, v161 :: v_dual_fmac_f32 v27, 0xbf167918, v86
	v_fmac_f32_e32 v37, 0x3f167918, v85
	v_fmac_f32_e32 v23, 0xbf167918, v85
	;; [unrolled: 1-line block ×6, first 2 shown]
	v_dual_fmac_f32 v32, 0x3e9e377a, v165 :: v_dual_add_f32 v61, v163, v164
	v_add_f32_e32 v43, v62, v56
	v_dual_fmac_f32 v22, 0x3e9e377a, v52 :: v_dual_fmac_f32 v31, 0x3e9e377a, v49
	v_fmac_f32_e32 v33, 0x3e9e377a, v50
	v_fmac_f32_e32 v21, 0x3e9e377a, v50
	;; [unrolled: 1-line block ×3, first 2 shown]
	v_add_f32_e32 v44, v63, v141
	v_dual_add_f32 v45, v84, v45 :: v_dual_fmac_f32 v40, 0x3e9e377a, v59
	v_fmac_f32_e32 v35, 0x3e9e377a, v53
	v_fmac_f32_e32 v27, 0x3e9e377a, v53
	;; [unrolled: 1-line block ×4, first 2 shown]
	v_dual_fmac_f32 v28, 0x3e9e377a, v58 :: v_dual_fmac_f32 v39, 0x3e9e377a, v60
	v_fmac_f32_e32 v29, 0x3e9e377a, v60
	v_fmac_f32_e32 v41, 0x3e9e377a, v61
	;; [unrolled: 1-line block ×3, first 2 shown]
	v_add_f32_e32 v47, v88, v47
	ds_store_2addr_b64 v146, v[42:43], v[30:31] offset1:25
	ds_store_2addr_b64 v146, v[32:33], v[20:21] offset0:50 offset1:75
	ds_store_b64 v146, v[18:19] offset:800
	ds_store_2addr_b64 v145, v[44:45], v[34:35] offset1:25
	ds_store_2addr_b64 v145, v[36:37], v[22:23] offset0:50 offset1:75
	ds_store_b64 v145, v[26:27] offset:800
	;; [unrolled: 3-line block ×3, first 2 shown]
	global_wb scope:SCOPE_SE
	s_wait_dscnt 0x0
	s_barrier_signal -1
	s_barrier_wait -1
	global_inv scope:SCOPE_SE
	ds_load_2addr_b64 v[16:19], v133 offset0:122 offset1:247
	ds_load_2addr_b64 v[20:23], v134 offset0:110 offset1:235
	;; [unrolled: 1-line block ×6, first 2 shown]
	v_mad_co_u64_u32 v[46:47], null, s4, v127, 0
	s_wait_dscnt 0x4
	v_mul_f32_e32 v59, v11, v23
	s_wait_dscnt 0x3
	v_mad_co_u64_u32 v[48:49], null, s7, v126, v[25:26]
	ds_load_2addr_b64 v[42:45], v128 offset1:125
	ds_load_b64 v[49:50], v128 offset:14000
	s_wait_dscnt 0x4
	v_mul_f32_e32 v56, v7, v31
	s_wait_dscnt 0x3
	v_mul_f32_e32 v58, v9, v35
	;; [unrolled: 2-line block ×3, first 2 shown]
	v_mul_f32_e32 v62, v13, v37
	v_mul_f32_e32 v52, v11, v21
	v_fmac_f32_e32 v56, v6, v30
	v_fmac_f32_e32 v58, v8, v34
	v_dual_fmac_f32 v59, v10, v22 :: v_dual_fmac_f32 v84, v0, v40
	v_dual_mul_f32 v63, v15, v27 :: v_dual_mul_f32 v54, v5, v29
	v_mul_f32_e32 v13, v13, v36
	v_fmac_f32_e32 v62, v12, v36
	s_delay_alu instid0(VALU_DEP_4)
	v_sub_f32_e32 v36, v58, v59
	v_mul_f32_e32 v25, v9, v19
	v_fmac_f32_e32 v63, v14, v26
	v_mul_f32_e32 v55, v5, v28
	v_mul_f32_e32 v60, v5, v39
	;; [unrolled: 1-line block ×3, first 2 shown]
	s_wait_dscnt 0x0
	v_mul_f32_e32 v85, v3, v50
	v_mul_f32_e32 v3, v3, v49
	v_dual_fmac_f32 v25, v8, v18 :: v_dual_fmac_f32 v52, v10, v20
	s_delay_alu instid0(VALU_DEP_3) | instskip(SKIP_3) | instid1(VALU_DEP_4)
	v_dual_fmac_f32 v54, v4, v28 :: v_dual_fmac_f32 v85, v2, v49
	v_add_f32_e32 v86, v16, v62
	v_dual_mul_f32 v51, v9, v18 :: v_dual_sub_f32 v90, v62, v63
	v_mul_f32_e32 v57, v7, v30
	v_sub_f32_e32 v91, v85, v84
	v_mul_f32_e32 v53, v11, v20
	s_delay_alu instid0(VALU_DEP_4)
	v_fma_f32 v18, v8, v19, -v51
	v_fma_f32 v20, v4, v29, -v55
	v_fmac_f32_e32 v60, v4, v38
	v_fma_f32 v30, v2, v50, -v3
	v_fma_f32 v19, v10, v21, -v53
	v_fma_f32 v21, v4, v39, -v5
	v_fma_f32 v4, v12, v37, -v13
	v_dual_sub_f32 v2, v25, v52 :: v_dual_sub_f32 v3, v56, v54
	v_add_f32_e32 v5, v25, v56
	v_mul_f32_e32 v15, v15, v26
	v_sub_f32_e32 v26, v19, v20
	v_dual_sub_f32 v88, v4, v30 :: v_dual_mul_f32 v1, v1, v40
	v_add_f32_e32 v144, v2, v3
	v_fma_f32 v2, -0.5, v5, v42
	v_mul_f32_e32 v61, v7, v33
	v_mul_f32_e32 v7, v7, v32
	;; [unrolled: 1-line block ×3, first 2 shown]
	v_fma_f32 v22, v0, v41, -v1
	v_sub_f32_e32 v39, v59, v58
	v_fmac_f32_e32 v61, v6, v32
	v_fma_f32 v29, v6, v33, -v7
	v_fma_f32 v7, v14, v27, -v15
	v_dual_add_f32 v33, v59, v60 :: v_dual_sub_f32 v140, v30, v22
	s_delay_alu instid0(VALU_DEP_4) | instskip(SKIP_1) | instid1(VALU_DEP_4)
	v_sub_f32_e32 v40, v60, v61
	v_fma_f32 v28, v6, v31, -v57
	v_sub_f32_e32 v139, v4, v7
	v_mul_f32_e32 v9, v9, v34
	v_add_f32_e32 v95, v17, v4
	v_dual_add_f32 v141, v4, v30 :: v_dual_sub_f32 v142, v7, v4
	v_fma_f32 v4, -0.5, v33, v44
	v_add_f32_e32 v33, v39, v40
	v_add_f32_e32 v40, v139, v140
	v_fma_f32 v8, v8, v35, -v9
	v_fma_f32 v9, v10, v23, -v11
	v_add_f32_e32 v0, v42, v25
	v_add_f32_e32 v12, v19, v20
	v_sub_f32_e32 v14, v28, v20
	s_delay_alu instid0(VALU_DEP_4)
	v_dual_add_f32 v32, v44, v58 :: v_dual_sub_f32 v35, v9, v21
	v_sub_f32_e32 v23, v18, v28
	v_add_f32_e32 v1, v52, v54
	v_sub_f32_e32 v37, v61, v60
	v_add_f32_e32 v41, v45, v8
	v_sub_f32_e32 v89, v7, v22
	v_dual_sub_f32 v13, v18, v19 :: v_dual_sub_f32 v6, v52, v25
	v_sub_f32_e32 v27, v52, v54
	v_dual_add_f32 v15, v18, v28 :: v_dual_sub_f32 v34, v8, v29
	v_sub_f32_e32 v53, v8, v9
	v_add_f32_e32 v52, v0, v52
	v_fma_f32 v0, -0.5, v1, v42
	v_fma_f32 v1, -0.5, v12, v43
	v_dual_add_f32 v145, v13, v14 :: v_dual_add_f32 v12, v32, v59
	v_add_f32_e32 v32, v36, v37
	v_sub_f32_e32 v55, v29, v21
	v_dual_add_f32 v13, v41, v9 :: v_dual_sub_f32 v10, v54, v56
	v_add_f32_e32 v38, v58, v61
	v_sub_f32_e32 v50, v58, v61
	v_dual_add_f32 v57, v8, v29 :: v_dual_sub_f32 v8, v9, v8
	v_sub_f32_e32 v58, v21, v29
	v_fma_f32 v3, -0.5, v15, v43
	v_add_f32_e32 v36, v53, v55
	v_add_f32_e32 v53, v13, v21
	;; [unrolled: 1-line block ×5, first 2 shown]
	v_fmamk_f32 v12, v34, 0xbf737871, v4
	v_add_f32_e32 v42, v6, v10
	v_dual_add_f32 v37, v8, v58 :: v_dual_fmamk_f32 v10, v26, 0x3f737871, v2
	v_fma_f32 v44, -0.5, v38, v44
	s_delay_alu instid0(VALU_DEP_4)
	v_fmac_f32_e32 v12, 0xbf167918, v35
	v_fmamk_f32 v8, v23, 0xbf737871, v0
	v_fmac_f32_e32 v0, 0x3f737871, v23
	v_add_f32_e32 v38, v90, v91
	v_dual_fmac_f32 v10, 0xbf167918, v23 :: v_dual_add_f32 v87, v63, v84
	v_fmac_f32_e32 v2, 0xbf737871, v26
	s_delay_alu instid0(VALU_DEP_4) | instskip(SKIP_4) | instid1(VALU_DEP_4)
	v_fmac_f32_e32 v0, 0x3f167918, v26
	v_add_f32_e32 v92, v62, v85
	v_dual_fmac_f32 v8, 0xbf167918, v26 :: v_dual_add_f32 v49, v9, v21
	v_fma_f32 v6, -0.5, v87, v16
	v_dual_add_f32 v26, v53, v29 :: v_dual_add_f32 v11, v11, v19
	v_fma_f32 v16, -0.5, v92, v16
	v_dual_sub_f32 v18, v19, v18 :: v_dual_sub_f32 v31, v20, v28
	v_fmac_f32_e32 v10, 0x3e9e377a, v42
	v_dual_sub_f32 v93, v63, v62 :: v_dual_sub_f32 v94, v84, v85
	v_fmac_f32_e32 v8, 0x3e9e377a, v144
	v_fma_f32 v5, -0.5, v49, v45
	v_dual_add_f32 v49, v11, v20 :: v_dual_fmamk_f32 v20, v89, 0x3f737871, v16
	v_add_f32_e32 v31, v18, v31
	v_add_f32_e32 v18, v86, v63
	v_fmac_f32_e32 v4, 0x3f737871, v34
	s_delay_alu instid0(VALU_DEP_4) | instskip(NEXT) | instid1(VALU_DEP_3)
	v_dual_add_f32 v39, v93, v94 :: v_dual_fmac_f32 v20, 0xbf167918, v88
	v_dual_add_f32 v19, v95, v7 :: v_dual_add_f32 v54, v18, v84
	v_fmamk_f32 v18, v88, 0xbf737871, v6
	s_delay_alu instid0(VALU_DEP_4)
	v_fmac_f32_e32 v4, 0x3f167918, v35
	v_add_f32_e32 v126, v7, v22
	v_fmamk_f32 v14, v35, 0x3f737871, v44
	v_fmac_f32_e32 v44, 0xbf737871, v35
	v_fmac_f32_e32 v20, 0x3e9e377a, v39
	v_dual_fmac_f32 v16, 0xbf737871, v89 :: v_dual_sub_f32 v25, v25, v56
	v_sub_f32_e32 v143, v22, v30
	v_add_f32_e32 v55, v19, v22
	v_add_f32_e32 v22, v43, v56
	v_dual_fmac_f32 v18, 0xbf167918, v89 :: v_dual_sub_f32 v51, v59, v60
	v_dual_fmac_f32 v4, 0x3e9e377a, v32 :: v_dual_fmac_f32 v45, -0.5, v57
	v_sub_f32_e32 v136, v63, v84
	v_fma_f32 v7, -0.5, v126, v17
	v_fmac_f32_e32 v17, -0.5, v141
	v_sub_f32_e32 v62, v62, v85
	v_fmac_f32_e32 v44, 0x3f167918, v34
	v_fmamk_f32 v9, v25, 0x3f737871, v1
	v_fmamk_f32 v11, v27, 0xbf737871, v3
	v_fmac_f32_e32 v3, 0x3f737871, v27
	v_fmac_f32_e32 v1, 0xbf737871, v25
	v_fmamk_f32 v13, v50, 0x3f737871, v5
	v_fmac_f32_e32 v18, 0x3e9e377a, v38
	v_fmamk_f32 v15, v51, 0xbf737871, v45
	v_fmac_f32_e32 v5, 0xbf737871, v50
	v_fmac_f32_e32 v45, 0x3f737871, v51
	v_fmamk_f32 v21, v136, 0xbf737871, v17
	v_fmac_f32_e32 v17, 0x3f737871, v136
	v_dual_fmac_f32 v6, 0x3f737871, v88 :: v_dual_fmamk_f32 v19, v62, 0x3f737871, v7
	v_fmac_f32_e32 v7, 0xbf737871, v62
	v_fmac_f32_e32 v9, 0x3f167918, v27
	v_dual_fmac_f32 v2, 0x3f167918, v23 :: v_dual_fmac_f32 v11, 0x3f167918, v25
	v_fmac_f32_e32 v3, 0xbf167918, v25
	v_dual_fmac_f32 v1, 0xbf167918, v27 :: v_dual_fmac_f32 v14, 0xbf167918, v34
	v_fmac_f32_e32 v13, 0x3f167918, v51
	v_fmac_f32_e32 v15, 0x3f167918, v50
	v_add_f32_e32 v41, v142, v143
	v_fmac_f32_e32 v5, 0xbf167918, v51
	v_fmac_f32_e32 v45, 0xbf167918, v50
	;; [unrolled: 1-line block ×4, first 2 shown]
	v_dual_add_f32 v23, v49, v28 :: v_dual_fmac_f32 v6, 0x3f167918, v89
	v_fmac_f32_e32 v19, 0x3f167918, v136
	v_fmac_f32_e32 v7, 0xbf167918, v136
	v_fmac_f32_e32 v21, 0x3f167918, v62
	v_dual_fmac_f32 v9, 0x3e9e377a, v145 :: v_dual_fmac_f32 v2, 0x3e9e377a, v42
	v_fmac_f32_e32 v11, 0x3e9e377a, v31
	v_fmac_f32_e32 v3, 0x3e9e377a, v31
	v_dual_add_f32 v25, v52, v61 :: v_dual_fmac_f32 v0, 0x3e9e377a, v144
	v_dual_fmac_f32 v1, 0x3e9e377a, v145 :: v_dual_fmac_f32 v12, 0x3e9e377a, v32
	v_dual_fmac_f32 v14, 0x3e9e377a, v33 :: v_dual_fmac_f32 v13, 0x3e9e377a, v36
	v_fmac_f32_e32 v15, 0x3e9e377a, v37
	v_dual_fmac_f32 v44, 0x3e9e377a, v33 :: v_dual_fmac_f32 v5, 0x3e9e377a, v36
	v_dual_fmac_f32 v45, 0x3e9e377a, v37 :: v_dual_fmac_f32 v16, 0x3e9e377a, v39
	v_fmac_f32_e32 v17, 0x3e9e377a, v41
	global_wb scope:SCOPE_SE
	s_barrier_signal -1
	s_barrier_wait -1
	global_inv scope:SCOPE_SE
	v_dual_add_f32 v27, v54, v85 :: v_dual_add_f32 v28, v55, v30
	v_dual_fmac_f32 v6, 0x3e9e377a, v38 :: v_dual_fmac_f32 v19, 0x3e9e377a, v40
	v_fmac_f32_e32 v7, 0x3e9e377a, v40
	v_fmac_f32_e32 v21, 0x3e9e377a, v41
	ds_store_2addr_b64 v128, v[22:23], v[8:9] offset1:125
	ds_store_2addr_b64 v133, v[10:11], v[2:3] offset0:122 offset1:247
	ds_store_2addr_b64 v130, v[0:1], v[25:26] offset0:116 offset1:241
	;; [unrolled: 1-line block ×6, first 2 shown]
	ds_store_b64 v135, v[6:7] offset:14000
	v_mad_co_u64_u32 v[16:17], null, s5, v127, v[47:48]
	global_wb scope:SCOPE_SE
	s_wait_dscnt 0x0
	s_barrier_signal -1
	s_barrier_wait -1
	global_inv scope:SCOPE_SE
	ds_load_2addr_b64 v[0:3], v130 offset0:116 offset1:241
	ds_load_2addr_b64 v[4:7], v129 offset0:98 offset1:223
	;; [unrolled: 1-line block ×3, first 2 shown]
	v_mov_b32_e32 v47, v16
	ds_load_2addr_b64 v[16:19], v132 offset0:104 offset1:229
	ds_load_2addr_b64 v[12:15], v131 offset0:92 offset1:217
	v_lshlrev_b64_e32 v[30:31], 3, v[46:47]
	s_wait_dscnt 0x4
	v_mul_f32_e32 v34, v65, v3
	v_mul_f32_e32 v35, v65, v2
	s_wait_dscnt 0x3
	v_mul_f32_e32 v37, v67, v4
	s_wait_dscnt 0x1
	v_dual_mul_f32 v40, v71, v7 :: v_dual_mul_f32 v47, v81, v16
	v_fmac_f32_e32 v34, v64, v2
	v_fma_f32 v2, v64, v3, -v35
	v_fma_f32 v3, v66, v5, -v37
	v_dual_mul_f32 v41, v71, v6 :: v_dual_mul_f32 v46, v81, v17
	v_fmac_f32_e32 v40, v70, v6
	v_fma_f32 v6, v80, v17, -v47
	s_delay_alu instid0(VALU_DEP_4)
	v_sub_f32_e32 v17, v2, v3
	v_dual_mov_b32 v25, v48 :: v_dual_mul_f32 v50, v77, v19
	s_wait_dscnt 0x0
	v_mul_f32_e32 v48, v83, v15
	v_mul_f32_e32 v36, v67, v5
	v_mul_f32_e32 v38, v69, v9
	v_lshlrev_b64_e32 v[28:29], 3, v[24:25]
	ds_load_2addr_b64 v[20:23], v128 offset1:125
	ds_load_b64 v[32:33], v128 offset:14000
	ds_load_2addr_b64 v[24:27], v133 offset0:122 offset1:247
	v_dual_fmac_f32 v50, v76, v18 :: v_dual_mul_f32 v39, v69, v8
	v_mul_f32_e32 v42, v73, v11
	v_mul_f32_e32 v44, v75, v13
	v_fmac_f32_e32 v46, v80, v16
	v_fmac_f32_e32 v48, v82, v14
	v_add_f32_e32 v54, v0, v50
	v_dual_mul_f32 v51, v77, v18 :: v_dual_fmac_f32 v36, v66, v4
	v_fmac_f32_e32 v38, v68, v8
	v_fma_f32 v4, v68, v9, -v39
	v_fmac_f32_e32 v42, v72, v10
	v_fmac_f32_e32 v44, v74, v12
	v_add_f32_e32 v47, v46, v48
	v_mul_f32_e32 v43, v73, v10
	v_fma_f32 v8, v76, v19, -v51
	s_wait_dscnt 0x2
	v_dual_add_f32 v19, v38, v40 :: v_dual_add_f32 v10, v20, v34
	s_wait_dscnt 0x1
	v_mul_f32_e32 v52, v79, v33
	v_add_f32_e32 v16, v22, v38
	v_sub_f32_e32 v35, v38, v40
	v_add_f32_e32 v38, v42, v44
	v_mul_f32_e32 v53, v79, v32
	v_fmac_f32_e32 v52, v78, v32
	v_fma_f32 v5, v72, v11, -v43
	s_wait_dscnt 0x0
	v_add_f32_e32 v37, v24, v42
	v_add_f32_e32 v11, v34, v36
	v_sub_f32_e32 v18, v34, v36
	v_add_f32_e32 v55, v50, v52
	v_sub_f32_e32 v42, v42, v44
	v_fma_f32 v22, -0.5, v19, v22
	v_add_f32_e32 v57, v1, v8
	v_sub_f32_e32 v50, v50, v52
	v_fma_f32 v0, -0.5, v55, v0
	v_mul_f32_e32 v45, v75, v12
	v_mul_f32_e32 v49, v83, v14
	v_add_f32_e32 v12, v21, v2
	v_add_f32_e32 v14, v2, v3
	;; [unrolled: 1-line block ×3, first 2 shown]
	v_fma_f32 v9, v74, v13, -v45
	v_fma_f32 v13, v82, v15, -v49
	v_add_f32_e32 v45, v26, v46
	v_fma_f32 v26, -0.5, v47, v26
	v_fma_f32 v10, -0.5, v38, v24
	v_fma_f32 v15, v78, v33, -v53
	v_sub_f32_e32 v49, v6, v13
	v_add_f32_e32 v43, v5, v9
	v_add_f32_e32 v33, v23, v4
	s_delay_alu instid0(VALU_DEP_4) | instskip(NEXT) | instid1(VALU_DEP_4)
	v_dual_sub_f32 v39, v5, v9 :: v_dual_add_f32 v58, v8, v15
	v_fmamk_f32 v24, v49, 0xbf5db3d7, v26
	v_fma_f32 v7, v70, v7, -v41
	v_add_f32_e32 v41, v25, v5
	v_add_f32_e32 v53, v6, v13
	v_fma_f32 v5, -0.5, v14, v21
	v_sub_f32_e32 v56, v8, v15
	v_add_f32_e32 v34, v4, v7
	v_sub_f32_e32 v32, v4, v7
	v_fma_f32 v4, -0.5, v11, v20
	v_fma_f32 v11, -0.5, v43, v25
	v_fmac_f32_e32 v1, -0.5, v58
	v_fmac_f32_e32 v23, -0.5, v34
	v_dual_add_f32 v51, v27, v6 :: v_dual_sub_f32 v46, v46, v48
	v_dual_add_f32 v6, v16, v40 :: v_dual_fmac_f32 v27, -0.5, v53
	v_fmamk_f32 v16, v17, 0xbf5db3d7, v4
	v_dual_fmac_f32 v4, 0x3f5db3d7, v17 :: v_dual_fmamk_f32 v17, v18, 0x3f5db3d7, v5
	v_fmac_f32_e32 v5, 0xbf5db3d7, v18
	v_add_f32_e32 v3, v12, v3
	v_dual_add_f32 v7, v33, v7 :: v_dual_fmamk_f32 v18, v32, 0xbf5db3d7, v22
	v_fmamk_f32 v19, v35, 0x3f5db3d7, v23
	v_fmamk_f32 v20, v39, 0xbf5db3d7, v10
	v_dual_fmamk_f32 v21, v42, 0x3f5db3d7, v11 :: v_dual_add_f32 v8, v37, v44
	v_dual_add_f32 v9, v41, v9 :: v_dual_fmac_f32 v22, 0x3f5db3d7, v32
	v_fmac_f32_e32 v23, 0xbf5db3d7, v35
	v_fmac_f32_e32 v10, 0x3f5db3d7, v39
	v_dual_fmac_f32 v11, 0xbf5db3d7, v42 :: v_dual_fmamk_f32 v32, v56, 0xbf5db3d7, v0
	v_dual_fmac_f32 v0, 0x3f5db3d7, v56 :: v_dual_fmamk_f32 v33, v50, 0x3f5db3d7, v1
	v_dual_fmac_f32 v1, 0xbf5db3d7, v50 :: v_dual_add_f32 v12, v45, v48
	v_dual_add_f32 v13, v51, v13 :: v_dual_add_f32 v14, v54, v52
	v_dual_add_f32 v15, v57, v15 :: v_dual_fmac_f32 v26, 0x3f5db3d7, v49
	v_fmamk_f32 v25, v46, 0x3f5db3d7, v27
	v_fmac_f32_e32 v27, 0xbf5db3d7, v46
	ds_store_b64 v128, v[16:17] offset:5000
	ds_store_b64 v128, v[4:5] offset:10000
	ds_store_2addr_b64 v128, v[2:3], v[6:7] offset1:125
	ds_store_2addr_b64 v134, v[18:19], v[20:21] offset0:110 offset1:235
	ds_store_2addr_b64 v147, v[22:23], v[10:11] offset0:95 offset1:220
	ds_store_2addr_b64 v133, v[8:9], v[12:13] offset0:122 offset1:247
	ds_store_b64 v128, v[26:27] offset:13000
	ds_store_b64 v128, v[14:15] offset:4000
	ds_store_2addr_b64 v132, v[24:25], v[32:33] offset0:104 offset1:229
	ds_store_b64 v128, v[0:1] offset:14000
	global_wb scope:SCOPE_SE
	s_wait_dscnt 0x0
	s_barrier_signal -1
	s_barrier_wait -1
	global_inv scope:SCOPE_SE
	ds_load_2addr_b64 v[0:3], v128 offset1:125
	ds_load_2addr_b64 v[4:7], v133 offset0:122 offset1:247
	ds_load_2addr_b64 v[8:11], v134 offset0:110 offset1:235
	;; [unrolled: 1-line block ×4, first 2 shown]
	v_add_co_u32 v20, vcc_lo, s2, v28
	s_wait_alu 0xfffd
	v_add_co_ci_u32_e32 v21, vcc_lo, s3, v29, vcc_lo
	s_mul_u64 s[2:3], s[4:5], 0xbb8
	s_delay_alu instid0(VALU_DEP_2) | instskip(SKIP_1) | instid1(VALU_DEP_2)
	v_add_co_u32 v28, vcc_lo, v20, v30
	s_wait_alu 0xfffd
	v_add_co_ci_u32_e32 v29, vcc_lo, v21, v31, vcc_lo
	ds_load_2addr_b64 v[20:23], v130 offset0:116 offset1:241
	ds_load_2addr_b64 v[24:27], v129 offset0:98 offset1:223
	ds_load_b64 v[32:33], v128 offset:14000
	s_wait_alu 0xfffe
	v_add_co_u32 v30, vcc_lo, v28, s2
	s_wait_alu 0xfffd
	v_add_co_ci_u32_e32 v31, vcc_lo, s3, v29, vcc_lo
	s_mulk_i32 s5, 0xd508
	s_wait_dscnt 0x7
	v_mul_f32_e32 v34, v115, v1
	v_mul_f32_e32 v35, v115, v0
	s_wait_dscnt 0x6
	v_mul_f32_e32 v37, v107, v6
	v_mul_f32_e32 v36, v107, v7
	s_wait_dscnt 0x5
	v_mul_f32_e32 v38, v105, v9
	v_fmac_f32_e32 v34, v114, v0
	v_fma_f32 v35, v114, v1, -v35
	v_fma_f32 v37, v106, v7, -v37
	v_dual_mul_f32 v39, v105, v8 :: v_dual_fmac_f32 v36, v106, v6
	v_fmac_f32_e32 v38, v104, v8
	v_cvt_f64_f32_e32 v[0:1], v34
	v_cvt_f64_f32_e32 v[6:7], v35
	;; [unrolled: 1-line block ×3, first 2 shown]
	v_fma_f32 v39, v104, v9, -v39
	v_cvt_f64_f32_e32 v[8:9], v36
	v_cvt_f64_f32_e32 v[36:37], v38
	s_wait_dscnt 0x4
	v_mul_f32_e32 v40, v99, v15
	v_mul_f32_e32 v41, v99, v14
	v_cvt_f64_f32_e32 v[38:39], v39
	s_wait_dscnt 0x3
	v_mul_f32_e32 v42, v101, v17
	v_dual_mul_f32 v43, v101, v16 :: v_dual_fmac_f32 v40, v98, v14
	v_fma_f32 v41, v98, v15, -v41
	v_mul_f32_e32 v44, v97, v3
	s_delay_alu instid0(VALU_DEP_4) | instskip(NEXT) | instid1(VALU_DEP_4)
	v_dual_mul_f32 v45, v97, v2 :: v_dual_fmac_f32 v42, v100, v16
	v_cvt_f64_f32_e32 v[14:15], v40
	s_delay_alu instid0(VALU_DEP_4)
	v_cvt_f64_f32_e32 v[40:41], v41
	v_fma_f32 v43, v100, v17, -v43
	v_fmac_f32_e32 v44, v96, v2
	v_cvt_f64_f32_e32 v[16:17], v42
	v_fma_f32 v45, v96, v3, -v45
	s_wait_dscnt 0x2
	v_mul_f32_e32 v46, v103, v21
	v_cvt_f64_f32_e32 v[2:3], v43
	v_dual_mul_f32 v47, v103, v20 :: v_dual_mul_f32 v48, v109, v11
	v_mul_f32_e32 v49, v109, v10
	v_dual_mul_f32 v53, v111, v18 :: v_dual_mul_f32 v54, v113, v5
	v_mul_f32_e32 v55, v113, v4
	v_fmac_f32_e32 v46, v102, v20
	s_wait_dscnt 0x1
	v_mul_f32_e32 v50, v119, v25
	v_mul_f32_e32 v52, v111, v19
	v_cvt_f64_f32_e32 v[42:43], v44
	v_fma_f32 v20, v102, v21, -v47
	v_fmac_f32_e32 v48, v108, v10
	v_fma_f32 v44, v108, v11, -v49
	v_fma_f32 v49, v110, v19, -v53
	v_mul_f64_e32 v[0:1], s[0:1], v[0:1]
	v_mul_f64_e32 v[6:7], s[0:1], v[6:7]
	;; [unrolled: 1-line block ×3, first 2 shown]
	v_fmac_f32_e32 v54, v112, v4
	v_mul_f64_e32 v[8:9], s[0:1], v[8:9]
	v_mul_f64_e32 v[36:37], s[0:1], v[36:37]
	v_fma_f32 v53, v112, v5, -v55
	v_cvt_f64_f32_e32 v[4:5], v45
	v_cvt_f64_f32_e32 v[10:11], v46
	v_dual_mul_f32 v51, v119, v24 :: v_dual_mul_f32 v56, v117, v23
	v_dual_mul_f32 v57, v117, v22 :: v_dual_mul_f32 v58, v123, v13
	v_mul_f32_e32 v60, v123, v12
	v_fmac_f32_e32 v50, v118, v24
	v_fmac_f32_e32 v52, v110, v18
	v_cvt_f64_f32_e32 v[18:19], v20
	v_fmac_f32_e32 v58, v122, v12
	v_cvt_f64_f32_e32 v[20:21], v48
	v_mul_f32_e32 v61, v121, v27
	v_mul_f32_e32 v62, v121, v26
	s_wait_dscnt 0x0
	v_mul_f32_e32 v63, v125, v33
	v_mul_f32_e32 v64, v125, v32
	v_fma_f32 v47, v118, v25, -v51
	v_fmac_f32_e32 v56, v116, v22
	v_fma_f32 v57, v116, v23, -v57
	v_mul_f64_e32 v[38:39], s[0:1], v[38:39]
	v_mul_f64_e32 v[14:15], s[0:1], v[14:15]
	;; [unrolled: 1-line block ×3, first 2 shown]
	v_cvt_f64_f32_e32 v[24:25], v44
	v_cvt_f64_f32_e32 v[40:41], v50
	v_fma_f32 v12, v122, v13, -v60
	v_fmac_f32_e32 v61, v120, v26
	v_fmac_f32_e32 v63, v124, v32
	v_cvt_f64_f32_e32 v[44:45], v47
	v_cvt_f64_f32_e32 v[46:47], v52
	;; [unrolled: 1-line block ×4, first 2 shown]
	v_cvt_f32_f64_e32 v0, v[0:1]
	v_cvt_f32_f64_e32 v1, v[6:7]
	;; [unrolled: 1-line block ×3, first 2 shown]
	v_fma_f32 v34, v120, v27, -v62
	v_cvt_f32_f64_e32 v6, v[8:9]
	v_cvt_f32_f64_e32 v8, v[36:37]
	v_fma_f32 v36, v124, v33, -v64
	v_cvt_f64_f32_e32 v[52:53], v53
	v_cvt_f64_f32_e32 v[54:55], v56
	;; [unrolled: 1-line block ×9, first 2 shown]
	v_mul_f64_e32 v[16:17], s[0:1], v[16:17]
	v_mul_f64_e32 v[2:3], s[0:1], v[2:3]
	;; [unrolled: 1-line block ×7, first 2 shown]
	v_cvt_f32_f64_e32 v9, v[38:39]
	v_add_co_u32 v38, vcc_lo, v30, s2
	v_cvt_f32_f64_e32 v14, v[14:15]
	v_cvt_f32_f64_e32 v15, v[22:23]
	v_mul_f64_e32 v[22:23], s[0:1], v[24:25]
	v_mul_f64_e32 v[40:41], s[0:1], v[40:41]
	s_wait_alu 0xfffd
	v_add_co_ci_u32_e32 v39, vcc_lo, s3, v31, vcc_lo
	v_mul_f64_e32 v[44:45], s[0:1], v[44:45]
	v_mul_f64_e32 v[46:47], s[0:1], v[46:47]
	;; [unrolled: 1-line block ×4, first 2 shown]
	v_add_co_u32 v24, vcc_lo, v38, s2
	s_wait_alu 0xfffd
	v_add_co_ci_u32_e32 v25, vcc_lo, s3, v39, vcc_lo
	s_delay_alu instid0(VALU_DEP_2)
	v_add_co_u32 v60, vcc_lo, v24, s2
	v_mul_f64_e32 v[52:53], s[0:1], v[52:53]
	v_mul_f64_e32 v[54:55], s[0:1], v[54:55]
	;; [unrolled: 1-line block ×9, first 2 shown]
	s_wait_alu 0xfffd
	v_add_co_ci_u32_e32 v61, vcc_lo, s3, v25, vcc_lo
	v_cvt_f32_f64_e32 v16, v[16:17]
	v_cvt_f32_f64_e32 v17, v[2:3]
	s_wait_alu 0xfffe
	s_sub_co_i32 s0, s5, s4
	v_mad_co_u64_u32 v[2:3], null, 0xffffd508, s4, v[60:61]
	v_cvt_f32_f64_e32 v42, v[42:43]
	v_cvt_f32_f64_e32 v43, v[4:5]
	v_cvt_f32_f64_e32 v4, v[10:11]
	v_cvt_f32_f64_e32 v5, v[18:19]
	v_cvt_f32_f64_e32 v18, v[20:21]
	s_wait_alu 0xfffe
	v_add_nc_u32_e32 v3, s0, v3
	v_add_co_u32 v10, vcc_lo, v2, s2
	v_cvt_f32_f64_e32 v19, v[22:23]
	v_cvt_f32_f64_e32 v22, v[40:41]
	s_wait_alu 0xfffd
	v_add_co_ci_u32_e32 v11, vcc_lo, s3, v3, vcc_lo
	v_add_co_u32 v20, vcc_lo, v10, s2
	v_cvt_f32_f64_e32 v23, v[44:45]
	s_wait_alu 0xfffd
	s_delay_alu instid0(VALU_DEP_3) | instskip(NEXT) | instid1(VALU_DEP_3)
	v_add_co_ci_u32_e32 v21, vcc_lo, s3, v11, vcc_lo
	v_add_co_u32 v40, vcc_lo, v20, s2
	v_cvt_f32_f64_e32 v44, v[46:47]
	s_wait_alu 0xfffd
	s_delay_alu instid0(VALU_DEP_3)
	v_add_co_ci_u32_e32 v41, vcc_lo, s3, v21, vcc_lo
	v_cvt_f32_f64_e32 v45, v[48:49]
	v_cvt_f32_f64_e32 v48, v[50:51]
	;; [unrolled: 1-line block ×5, first 2 shown]
	v_add_co_u32 v46, vcc_lo, v40, s2
	v_cvt_f32_f64_e32 v52, v[58:59]
	v_cvt_f32_f64_e32 v53, v[12:13]
	;; [unrolled: 1-line block ×4, first 2 shown]
	s_wait_alu 0xfffd
	v_add_co_ci_u32_e32 v47, vcc_lo, s3, v41, vcc_lo
	v_cvt_f32_f64_e32 v26, v[34:35]
	v_cvt_f32_f64_e32 v27, v[36:37]
	s_clause 0x4
	global_store_b64 v[28:29], v[0:1], off
	global_store_b64 v[30:31], v[6:7], off
	;; [unrolled: 1-line block ×6, first 2 shown]
	v_mad_co_u64_u32 v[32:33], null, 0xffffd508, s4, v[46:47]
	global_store_b64 v[10:11], v[4:5], off
	v_add_nc_u32_e32 v33, s0, v33
	v_add_co_u32 v0, vcc_lo, v32, s2
	global_store_b64 v[20:21], v[18:19], off
	s_wait_alu 0xfffd
	v_add_co_ci_u32_e32 v1, vcc_lo, s3, v33, vcc_lo
	v_add_co_u32 v2, vcc_lo, v0, s2
	global_store_b64 v[40:41], v[22:23], off
	s_wait_alu 0xfffd
	v_add_co_ci_u32_e32 v3, vcc_lo, s3, v1, vcc_lo
	;; [unrolled: 4-line block ×3, first 2 shown]
	v_add_co_u32 v6, vcc_lo, v4, s2
	s_wait_alu 0xfffd
	s_delay_alu instid0(VALU_DEP_2)
	v_add_co_ci_u32_e32 v7, vcc_lo, s3, v5, vcc_lo
	global_store_b64 v[32:33], v[48:49], off
	global_store_b64 v[0:1], v[50:51], off
	;; [unrolled: 1-line block ×5, first 2 shown]
.LBB0_2:
	s_nop 0
	s_sendmsg sendmsg(MSG_DEALLOC_VGPRS)
	s_endpgm
	.section	.rodata,"a",@progbits
	.p2align	6, 0x0
	.amdhsa_kernel bluestein_single_back_len1875_dim1_sp_op_CI_CI
		.amdhsa_group_segment_fixed_size 30000
		.amdhsa_private_segment_fixed_size 0
		.amdhsa_kernarg_size 104
		.amdhsa_user_sgpr_count 2
		.amdhsa_user_sgpr_dispatch_ptr 0
		.amdhsa_user_sgpr_queue_ptr 0
		.amdhsa_user_sgpr_kernarg_segment_ptr 1
		.amdhsa_user_sgpr_dispatch_id 0
		.amdhsa_user_sgpr_private_segment_size 0
		.amdhsa_wavefront_size32 1
		.amdhsa_uses_dynamic_stack 0
		.amdhsa_enable_private_segment 0
		.amdhsa_system_sgpr_workgroup_id_x 1
		.amdhsa_system_sgpr_workgroup_id_y 0
		.amdhsa_system_sgpr_workgroup_id_z 0
		.amdhsa_system_sgpr_workgroup_info 0
		.amdhsa_system_vgpr_workitem_id 0
		.amdhsa_next_free_vgpr 211
		.amdhsa_next_free_sgpr 20
		.amdhsa_reserve_vcc 1
		.amdhsa_float_round_mode_32 0
		.amdhsa_float_round_mode_16_64 0
		.amdhsa_float_denorm_mode_32 3
		.amdhsa_float_denorm_mode_16_64 3
		.amdhsa_fp16_overflow 0
		.amdhsa_workgroup_processor_mode 1
		.amdhsa_memory_ordered 1
		.amdhsa_forward_progress 0
		.amdhsa_round_robin_scheduling 0
		.amdhsa_exception_fp_ieee_invalid_op 0
		.amdhsa_exception_fp_denorm_src 0
		.amdhsa_exception_fp_ieee_div_zero 0
		.amdhsa_exception_fp_ieee_overflow 0
		.amdhsa_exception_fp_ieee_underflow 0
		.amdhsa_exception_fp_ieee_inexact 0
		.amdhsa_exception_int_div_zero 0
	.end_amdhsa_kernel
	.text
.Lfunc_end0:
	.size	bluestein_single_back_len1875_dim1_sp_op_CI_CI, .Lfunc_end0-bluestein_single_back_len1875_dim1_sp_op_CI_CI
                                        ; -- End function
	.section	.AMDGPU.csdata,"",@progbits
; Kernel info:
; codeLenInByte = 17108
; NumSgprs: 22
; NumVgprs: 211
; ScratchSize: 0
; MemoryBound: 0
; FloatMode: 240
; IeeeMode: 1
; LDSByteSize: 30000 bytes/workgroup (compile time only)
; SGPRBlocks: 2
; VGPRBlocks: 26
; NumSGPRsForWavesPerEU: 22
; NumVGPRsForWavesPerEU: 211
; Occupancy: 7
; WaveLimiterHint : 1
; COMPUTE_PGM_RSRC2:SCRATCH_EN: 0
; COMPUTE_PGM_RSRC2:USER_SGPR: 2
; COMPUTE_PGM_RSRC2:TRAP_HANDLER: 0
; COMPUTE_PGM_RSRC2:TGID_X_EN: 1
; COMPUTE_PGM_RSRC2:TGID_Y_EN: 0
; COMPUTE_PGM_RSRC2:TGID_Z_EN: 0
; COMPUTE_PGM_RSRC2:TIDIG_COMP_CNT: 0
	.text
	.p2alignl 7, 3214868480
	.fill 96, 4, 3214868480
	.type	__hip_cuid_cc2bfcb9f093fe72,@object ; @__hip_cuid_cc2bfcb9f093fe72
	.section	.bss,"aw",@nobits
	.globl	__hip_cuid_cc2bfcb9f093fe72
__hip_cuid_cc2bfcb9f093fe72:
	.byte	0                               ; 0x0
	.size	__hip_cuid_cc2bfcb9f093fe72, 1

	.ident	"AMD clang version 19.0.0git (https://github.com/RadeonOpenCompute/llvm-project roc-6.4.0 25133 c7fe45cf4b819c5991fe208aaa96edf142730f1d)"
	.section	".note.GNU-stack","",@progbits
	.addrsig
	.addrsig_sym __hip_cuid_cc2bfcb9f093fe72
	.amdgpu_metadata
---
amdhsa.kernels:
  - .args:
      - .actual_access:  read_only
        .address_space:  global
        .offset:         0
        .size:           8
        .value_kind:     global_buffer
      - .actual_access:  read_only
        .address_space:  global
        .offset:         8
        .size:           8
        .value_kind:     global_buffer
      - .actual_access:  read_only
        .address_space:  global
        .offset:         16
        .size:           8
        .value_kind:     global_buffer
      - .actual_access:  read_only
        .address_space:  global
        .offset:         24
        .size:           8
        .value_kind:     global_buffer
      - .actual_access:  read_only
        .address_space:  global
        .offset:         32
        .size:           8
        .value_kind:     global_buffer
      - .offset:         40
        .size:           8
        .value_kind:     by_value
      - .address_space:  global
        .offset:         48
        .size:           8
        .value_kind:     global_buffer
      - .address_space:  global
        .offset:         56
        .size:           8
        .value_kind:     global_buffer
      - .address_space:  global
        .offset:         64
        .size:           8
        .value_kind:     global_buffer
      - .address_space:  global
        .offset:         72
        .size:           8
        .value_kind:     global_buffer
      - .offset:         80
        .size:           4
        .value_kind:     by_value
      - .address_space:  global
        .offset:         88
        .size:           8
        .value_kind:     global_buffer
      - .address_space:  global
        .offset:         96
        .size:           8
        .value_kind:     global_buffer
    .group_segment_fixed_size: 30000
    .kernarg_segment_align: 8
    .kernarg_segment_size: 104
    .language:       OpenCL C
    .language_version:
      - 2
      - 0
    .max_flat_workgroup_size: 250
    .name:           bluestein_single_back_len1875_dim1_sp_op_CI_CI
    .private_segment_fixed_size: 0
    .sgpr_count:     22
    .sgpr_spill_count: 0
    .symbol:         bluestein_single_back_len1875_dim1_sp_op_CI_CI.kd
    .uniform_work_group_size: 1
    .uses_dynamic_stack: false
    .vgpr_count:     211
    .vgpr_spill_count: 0
    .wavefront_size: 32
    .workgroup_processor_mode: 1
amdhsa.target:   amdgcn-amd-amdhsa--gfx1201
amdhsa.version:
  - 1
  - 2
...

	.end_amdgpu_metadata
